;; amdgpu-corpus repo=ROCm/rocFFT kind=compiled arch=gfx950 opt=O3
	.text
	.amdgcn_target "amdgcn-amd-amdhsa--gfx950"
	.amdhsa_code_object_version 6
	.protected	fft_rtc_back_len1680_factors_2_2_2_2_3_7_5_wgs_112_tpt_112_halfLds_sp_op_CI_CI_unitstride_sbrr_R2C_dirReg ; -- Begin function fft_rtc_back_len1680_factors_2_2_2_2_3_7_5_wgs_112_tpt_112_halfLds_sp_op_CI_CI_unitstride_sbrr_R2C_dirReg
	.globl	fft_rtc_back_len1680_factors_2_2_2_2_3_7_5_wgs_112_tpt_112_halfLds_sp_op_CI_CI_unitstride_sbrr_R2C_dirReg
	.p2align	8
	.type	fft_rtc_back_len1680_factors_2_2_2_2_3_7_5_wgs_112_tpt_112_halfLds_sp_op_CI_CI_unitstride_sbrr_R2C_dirReg,@function
fft_rtc_back_len1680_factors_2_2_2_2_3_7_5_wgs_112_tpt_112_halfLds_sp_op_CI_CI_unitstride_sbrr_R2C_dirReg: ; @fft_rtc_back_len1680_factors_2_2_2_2_3_7_5_wgs_112_tpt_112_halfLds_sp_op_CI_CI_unitstride_sbrr_R2C_dirReg
; %bb.0:
	s_load_dwordx4 s[4:7], s[0:1], 0x58
	s_load_dwordx4 s[8:11], s[0:1], 0x0
	;; [unrolled: 1-line block ×3, first 2 shown]
	v_mul_u32_u24_e32 v1, 0x24a, v0
	v_add_u32_sdwa v6, s2, v1 dst_sel:DWORD dst_unused:UNUSED_PAD src0_sel:DWORD src1_sel:WORD_1
	v_mov_b32_e32 v4, 0
	s_waitcnt lgkmcnt(0)
	v_cmp_lt_u64_e64 s[2:3], s[10:11], 2
	v_mov_b32_e32 v7, v4
	s_and_b64 vcc, exec, s[2:3]
	v_mov_b64_e32 v[2:3], 0
	s_cbranch_vccnz .LBB0_8
; %bb.1:
	s_load_dwordx2 s[2:3], s[0:1], 0x10
	s_add_u32 s16, s14, 8
	s_addc_u32 s17, s15, 0
	s_add_u32 s18, s12, 8
	s_addc_u32 s19, s13, 0
	s_waitcnt lgkmcnt(0)
	s_add_u32 s20, s2, 8
	v_mov_b64_e32 v[2:3], 0
	s_addc_u32 s21, s3, 0
	s_mov_b64 s[22:23], 1
	v_mov_b64_e32 v[36:37], v[2:3]
.LBB0_2:                                ; =>This Inner Loop Header: Depth=1
	s_load_dwordx2 s[24:25], s[20:21], 0x0
                                        ; implicit-def: $vgpr40_vgpr41
	s_waitcnt lgkmcnt(0)
	v_or_b32_e32 v5, s25, v7
	v_cmp_ne_u64_e32 vcc, 0, v[4:5]
	s_and_saveexec_b64 s[2:3], vcc
	s_xor_b64 s[26:27], exec, s[2:3]
	s_cbranch_execz .LBB0_4
; %bb.3:                                ;   in Loop: Header=BB0_2 Depth=1
	v_cvt_f32_u32_e32 v1, s24
	v_cvt_f32_u32_e32 v5, s25
	s_sub_u32 s2, 0, s24
	s_subb_u32 s3, 0, s25
	v_fmac_f32_e32 v1, 0x4f800000, v5
	v_rcp_f32_e32 v1, v1
	s_nop 0
	v_mul_f32_e32 v1, 0x5f7ffffc, v1
	v_mul_f32_e32 v5, 0x2f800000, v1
	v_trunc_f32_e32 v5, v5
	v_fmac_f32_e32 v1, 0xcf800000, v5
	v_cvt_u32_f32_e32 v5, v5
	v_cvt_u32_f32_e32 v1, v1
	v_mul_lo_u32 v8, s2, v5
	v_mul_hi_u32 v10, s2, v1
	v_mul_lo_u32 v9, s3, v1
	v_add_u32_e32 v10, v10, v8
	v_mul_lo_u32 v12, s2, v1
	v_add_u32_e32 v13, v10, v9
	v_mul_hi_u32 v8, v1, v12
	v_mul_hi_u32 v11, v1, v13
	v_mul_lo_u32 v10, v1, v13
	v_mov_b32_e32 v9, v4
	v_lshl_add_u64 v[8:9], v[8:9], 0, v[10:11]
	v_mul_hi_u32 v11, v5, v12
	v_mul_lo_u32 v12, v5, v12
	v_add_co_u32_e32 v8, vcc, v8, v12
	v_mul_hi_u32 v10, v5, v13
	s_nop 0
	v_addc_co_u32_e32 v8, vcc, v9, v11, vcc
	v_mov_b32_e32 v9, v4
	s_nop 0
	v_addc_co_u32_e32 v11, vcc, 0, v10, vcc
	v_mul_lo_u32 v10, v5, v13
	v_lshl_add_u64 v[8:9], v[8:9], 0, v[10:11]
	v_add_co_u32_e32 v1, vcc, v1, v8
	v_mul_lo_u32 v10, s2, v1
	s_nop 0
	v_addc_co_u32_e32 v5, vcc, v5, v9, vcc
	v_mul_lo_u32 v8, s2, v5
	v_mul_hi_u32 v9, s2, v1
	v_add_u32_e32 v8, v9, v8
	v_mul_lo_u32 v9, s3, v1
	v_add_u32_e32 v12, v8, v9
	v_mul_hi_u32 v14, v5, v10
	v_mul_lo_u32 v15, v5, v10
	v_mul_hi_u32 v9, v1, v12
	v_mul_lo_u32 v8, v1, v12
	v_mul_hi_u32 v10, v1, v10
	v_mov_b32_e32 v11, v4
	v_lshl_add_u64 v[8:9], v[10:11], 0, v[8:9]
	v_add_co_u32_e32 v8, vcc, v8, v15
	v_mul_hi_u32 v13, v5, v12
	s_nop 0
	v_addc_co_u32_e32 v8, vcc, v9, v14, vcc
	v_mul_lo_u32 v10, v5, v12
	s_nop 0
	v_addc_co_u32_e32 v11, vcc, 0, v13, vcc
	v_mov_b32_e32 v9, v4
	v_lshl_add_u64 v[8:9], v[8:9], 0, v[10:11]
	v_add_co_u32_e32 v1, vcc, v1, v8
	v_mul_hi_u32 v10, v6, v1
	s_nop 0
	v_addc_co_u32_e32 v5, vcc, v5, v9, vcc
	v_mad_u64_u32 v[8:9], s[2:3], v6, v5, 0
	v_mov_b32_e32 v11, v4
	v_lshl_add_u64 v[8:9], v[10:11], 0, v[8:9]
	v_mad_u64_u32 v[12:13], s[2:3], v7, v1, 0
	v_add_co_u32_e32 v1, vcc, v8, v12
	v_mad_u64_u32 v[10:11], s[2:3], v7, v5, 0
	s_nop 0
	v_addc_co_u32_e32 v8, vcc, v9, v13, vcc
	v_mov_b32_e32 v9, v4
	s_nop 0
	v_addc_co_u32_e32 v11, vcc, 0, v11, vcc
	v_lshl_add_u64 v[8:9], v[8:9], 0, v[10:11]
	v_mul_lo_u32 v1, s25, v8
	v_mul_lo_u32 v5, s24, v9
	v_mad_u64_u32 v[10:11], s[2:3], s24, v8, 0
	v_add3_u32 v1, v11, v5, v1
	v_sub_u32_e32 v5, v7, v1
	v_mov_b32_e32 v11, s25
	v_sub_co_u32_e32 v14, vcc, v6, v10
	v_lshl_add_u64 v[12:13], v[8:9], 0, 1
	s_nop 0
	v_subb_co_u32_e64 v5, s[2:3], v5, v11, vcc
	v_subrev_co_u32_e64 v10, s[2:3], s24, v14
	v_subb_co_u32_e32 v1, vcc, v7, v1, vcc
	s_nop 0
	v_subbrev_co_u32_e64 v5, s[2:3], 0, v5, s[2:3]
	v_cmp_le_u32_e64 s[2:3], s25, v5
	v_cmp_le_u32_e32 vcc, s25, v1
	s_nop 0
	v_cndmask_b32_e64 v11, 0, -1, s[2:3]
	v_cmp_le_u32_e64 s[2:3], s24, v10
	s_nop 1
	v_cndmask_b32_e64 v10, 0, -1, s[2:3]
	v_cmp_eq_u32_e64 s[2:3], s25, v5
	s_nop 1
	v_cndmask_b32_e64 v5, v11, v10, s[2:3]
	v_lshl_add_u64 v[10:11], v[8:9], 0, 2
	v_cmp_ne_u32_e64 s[2:3], 0, v5
	s_nop 1
	v_cndmask_b32_e64 v5, v13, v11, s[2:3]
	v_cndmask_b32_e64 v11, 0, -1, vcc
	v_cmp_le_u32_e32 vcc, s24, v14
	s_nop 1
	v_cndmask_b32_e64 v13, 0, -1, vcc
	v_cmp_eq_u32_e32 vcc, s25, v1
	s_nop 1
	v_cndmask_b32_e32 v1, v11, v13, vcc
	v_cmp_ne_u32_e32 vcc, 0, v1
	v_cndmask_b32_e64 v1, v12, v10, s[2:3]
	s_nop 0
	v_cndmask_b32_e32 v41, v9, v5, vcc
	v_cndmask_b32_e32 v40, v8, v1, vcc
.LBB0_4:                                ;   in Loop: Header=BB0_2 Depth=1
	s_andn2_saveexec_b64 s[2:3], s[26:27]
	s_cbranch_execz .LBB0_6
; %bb.5:                                ;   in Loop: Header=BB0_2 Depth=1
	v_cvt_f32_u32_e32 v1, s24
	s_sub_i32 s26, 0, s24
	v_mov_b32_e32 v41, v4
	v_rcp_iflag_f32_e32 v1, v1
	s_nop 0
	v_mul_f32_e32 v1, 0x4f7ffffe, v1
	v_cvt_u32_f32_e32 v1, v1
	v_mul_lo_u32 v5, s26, v1
	v_mul_hi_u32 v5, v1, v5
	v_add_u32_e32 v1, v1, v5
	v_mul_hi_u32 v1, v6, v1
	v_mul_lo_u32 v5, v1, s24
	v_sub_u32_e32 v5, v6, v5
	v_add_u32_e32 v8, 1, v1
	v_subrev_u32_e32 v9, s24, v5
	v_cmp_le_u32_e32 vcc, s24, v5
	s_nop 1
	v_cndmask_b32_e32 v5, v5, v9, vcc
	v_cndmask_b32_e32 v1, v1, v8, vcc
	v_add_u32_e32 v8, 1, v1
	v_cmp_le_u32_e32 vcc, s24, v5
	s_nop 1
	v_cndmask_b32_e32 v40, v1, v8, vcc
.LBB0_6:                                ;   in Loop: Header=BB0_2 Depth=1
	s_or_b64 exec, exec, s[2:3]
	v_mad_u64_u32 v[8:9], s[2:3], v40, s24, 0
	s_load_dwordx2 s[2:3], s[18:19], 0x0
	v_mul_lo_u32 v1, v41, s24
	v_mul_lo_u32 v5, v40, s25
	s_load_dwordx2 s[24:25], s[16:17], 0x0
	s_add_u32 s22, s22, 1
	v_add3_u32 v1, v9, v5, v1
	v_sub_co_u32_e32 v5, vcc, v6, v8
	s_addc_u32 s23, s23, 0
	s_nop 0
	v_subb_co_u32_e32 v1, vcc, v7, v1, vcc
	s_add_u32 s16, s16, 8
	s_waitcnt lgkmcnt(0)
	v_mul_lo_u32 v6, s2, v1
	v_mul_lo_u32 v7, s3, v5
	v_mad_u64_u32 v[2:3], s[2:3], s2, v5, v[2:3]
	s_addc_u32 s17, s17, 0
	v_add3_u32 v3, v7, v3, v6
	v_mul_lo_u32 v1, s24, v1
	v_mul_lo_u32 v6, s25, v5
	v_mad_u64_u32 v[36:37], s[2:3], s24, v5, v[36:37]
	s_add_u32 s18, s18, 8
	v_add3_u32 v37, v6, v37, v1
	s_addc_u32 s19, s19, 0
	v_mov_b64_e32 v[6:7], s[10:11]
	s_add_u32 s20, s20, 8
	v_cmp_ge_u64_e32 vcc, s[22:23], v[6:7]
	s_addc_u32 s21, s21, 0
	s_cbranch_vccnz .LBB0_9
; %bb.7:                                ;   in Loop: Header=BB0_2 Depth=1
	v_mov_b64_e32 v[6:7], v[40:41]
	s_branch .LBB0_2
.LBB0_8:
	v_mov_b64_e32 v[36:37], v[2:3]
	v_mov_b64_e32 v[40:41], v[6:7]
.LBB0_9:
	s_load_dwordx2 s[18:19], s[0:1], 0x28
	s_lshl_b64 s[16:17], s[10:11], 3
	s_add_u32 s2, s14, s16
	s_addc_u32 s3, s15, s17
                                        ; implicit-def: $vgpr38
                                        ; implicit-def: $vgpr42
                                        ; implicit-def: $vgpr54
                                        ; implicit-def: $vgpr52
                                        ; implicit-def: $vgpr50
                                        ; implicit-def: $vgpr48
                                        ; implicit-def: $vgpr46
                                        ; implicit-def: $vgpr44
	s_waitcnt lgkmcnt(0)
	v_cmp_gt_u64_e64 s[0:1], s[18:19], v[40:41]
	v_cmp_le_u64_e32 vcc, s[18:19], v[40:41]
	s_and_saveexec_b64 s[10:11], vcc
	s_xor_b64 s[10:11], exec, s[10:11]
; %bb.10:
	s_mov_b32 s14, 0x2492493
	v_mul_hi_u32 v1, v0, s14
	v_mul_u32_u24_e32 v1, 0x70, v1
	v_sub_u32_e32 v38, v0, v1
	v_add_u32_e32 v42, 0x70, v38
	v_add_u32_e32 v54, 0xe0, v38
	;; [unrolled: 1-line block ×7, first 2 shown]
                                        ; implicit-def: $vgpr0
                                        ; implicit-def: $vgpr2_vgpr3
; %bb.11:
	s_andn2_saveexec_b64 s[10:11], s[10:11]
	s_cbranch_execz .LBB0_13
; %bb.12:
	s_add_u32 s12, s12, s16
	s_addc_u32 s13, s13, s17
	s_load_dwordx2 s[12:13], s[12:13], 0x0
	s_mov_b32 s14, 0x2492493
	s_waitcnt lgkmcnt(0)
	v_mul_lo_u32 v1, s13, v40
	v_mul_lo_u32 v6, s12, v41
	v_mad_u64_u32 v[4:5], s[12:13], s12, v40, 0
	v_add3_u32 v5, v5, v6, v1
	v_mul_hi_u32 v1, v0, s14
	v_mul_u32_u24_e32 v1, 0x70, v1
	v_sub_u32_e32 v38, v0, v1
	v_lshl_add_u64 v[0:1], v[4:5], 3, s[4:5]
	v_lshl_add_u64 v[0:1], v[2:3], 3, v[0:1]
	v_lshlrev_b32_e32 v2, 3, v38
	v_mov_b32_e32 v3, 0
	v_lshl_add_u64 v[4:5], v[0:1], 0, v[2:3]
	s_movk_i32 s4, 0x1000
	v_add_co_u32_e32 v14, vcc, s4, v4
	v_add_u32_e32 v34, 0, v2
	s_nop 0
	v_addc_co_u32_e32 v15, vcc, 0, v5, vcc
	v_or_b32_e32 v2, 0x1c00, v2
	s_movk_i32 s4, 0x2000
	v_lshl_add_u64 v[0:1], v[0:1], 0, v[2:3]
	v_add_co_u32_e32 v2, vcc, s4, v4
	global_load_dwordx2 v[6:7], v[4:5], off
	global_load_dwordx2 v[8:9], v[4:5], off offset:896
	global_load_dwordx2 v[10:11], v[4:5], off offset:1792
	;; [unrolled: 1-line block ×3, first 2 shown]
	v_addc_co_u32_e32 v3, vcc, 0, v5, vcc
	global_load_dwordx2 v[16:17], v[4:5], off offset:3584
	global_load_dwordx2 v[18:19], v[14:15], off offset:384
	;; [unrolled: 1-line block ×6, first 2 shown]
	global_load_dwordx2 v[28:29], v[0:1], off
	global_load_dwordx2 v[30:31], v[14:15], off offset:3968
	v_add_co_u32_e32 v0, vcc, 0x3000, v4
	v_add_u32_e32 v42, 0x70, v38
	s_nop 0
	v_addc_co_u32_e32 v1, vcc, 0, v5, vcc
	global_load_dwordx2 v[4:5], v[2:3], off offset:2560
	global_load_dwordx2 v[14:15], v[2:3], off offset:3456
	;; [unrolled: 1-line block ×3, first 2 shown]
	v_add_u32_e32 v54, 0xe0, v38
	v_add_u32_e32 v52, 0x150, v38
	v_add_u32_e32 v50, 0x1c0, v38
	v_add_u32_e32 v48, 0x230, v38
	v_add_u32_e32 v46, 0x2a0, v38
	v_add_u32_e32 v44, 0x310, v38
	v_add_u32_e32 v0, 0x400, v34
	v_add_u32_e32 v1, 0xc00, v34
	v_add_u32_e32 v2, 0x1400, v34
	v_add_u32_e32 v3, 0x1800, v34
	v_add_u32_e32 v35, 0x2000, v34
	v_add_u32_e32 v39, 0x2800, v34
	s_waitcnt vmcnt(13)
	ds_write2_b64 v34, v[6:7], v[8:9] offset1:112
	s_waitcnt vmcnt(11)
	ds_write2_b64 v0, v[10:11], v[12:13] offset0:96 offset1:208
	s_waitcnt vmcnt(9)
	ds_write2_b64 v1, v[16:17], v[18:19] offset0:64 offset1:176
	s_waitcnt vmcnt(7)
	ds_write2_b64 v2, v[20:21], v[22:23] offset0:32 offset1:144
	s_waitcnt vmcnt(3)
	ds_write2_b64 v3, v[28:29], v[30:31] offset0:128 offset1:240
	ds_write2_b64 v35, v[24:25], v[26:27] offset0:96 offset1:208
	s_waitcnt vmcnt(1)
	ds_write2_b64 v39, v[4:5], v[14:15] offset0:64 offset1:176
	s_waitcnt vmcnt(0)
	ds_write_b64 v34, v[32:33] offset:12544
.LBB0_13:
	s_or_b64 exec, exec, s[10:11]
	v_lshlrev_b32_e32 v39, 3, v38
	v_add_u32_e32 v45, 0, v39
	v_add_u32_e32 v0, 0x1400, v45
	;; [unrolled: 1-line block ×3, first 2 shown]
	s_load_dwordx2 s[4:5], s[2:3], 0x0
	s_waitcnt lgkmcnt(0)
	s_barrier
	ds_read2_b64 v[0:3], v0 offset0:32 offset1:144
	ds_read2_b64 v[4:7], v4 offset0:104 offset1:216
	v_add_u32_e32 v8, 0x2800, v45
	ds_read2_b64 v[20:23], v8 offset0:8 offset1:120
	ds_read2_b64 v[26:29], v45 offset1:112
	v_add_u32_e32 v9, v45, v39
	s_waitcnt lgkmcnt(2)
	v_pk_add_f32 v[14:15], v[2:3], v[6:7] neg_lo:[0,1] neg_hi:[0,1]
	v_lshl_add_u32 v58, v42, 4, 0
	v_pk_fma_f32 v[12:13], v[2:3], 2.0, v[14:15] op_sel_hi:[1,0,1] neg_lo:[0,0,1] neg_hi:[0,0,1]
	v_add_u32_e32 v2, 0xc00, v45
	ds_read2_b64 v[16:19], v2 offset0:64 offset1:176
	v_pk_add_f32 v[2:3], v[0:1], v[4:5] neg_lo:[0,1] neg_hi:[0,1]
	v_add_u32_e32 v4, 0x2000, v45
	v_pk_fma_f32 v[6:7], v[0:1], 2.0, v[2:3] op_sel_hi:[1,0,1] neg_lo:[0,0,1] neg_hi:[0,0,1]
	v_add_u32_e32 v0, 0x400, v45
	s_waitcnt lgkmcnt(0)
	v_pk_add_f32 v[10:11], v[18:19], v[22:23] neg_lo:[0,1] neg_hi:[0,1]
	v_pk_add_f32 v[60:61], v[16:17], v[20:21] neg_lo:[0,1] neg_hi:[0,1]
	v_pk_fma_f32 v[34:35], v[18:19], 2.0, v[10:11] op_sel_hi:[1,0,1] neg_lo:[0,0,1] neg_hi:[0,0,1]
	ds_read2_b64 v[18:21], v0 offset0:96 offset1:208
	v_add_u32_e32 v0, 0x1800, v45
	ds_read2_b64 v[30:33], v0 offset0:72 offset1:184
	ds_read2_b64 v[22:25], v4 offset0:40 offset1:152
	v_lshl_add_u32 v56, v54, 4, 0
	v_lshl_add_u32 v55, v52, 4, 0
	;; [unrolled: 1-line block ×3, first 2 shown]
	s_waitcnt lgkmcnt(1)
	v_pk_add_f32 v[30:31], v[26:27], v[30:31] neg_lo:[0,1] neg_hi:[0,1]
	v_lshl_add_u32 v59, v48, 4, 0
	v_lshl_add_u32 v57, v46, 4, 0
	s_waitcnt lgkmcnt(0)
	v_pk_add_f32 v[24:25], v[20:21], v[24:25] neg_lo:[0,1] neg_hi:[0,1]
	v_pk_add_f32 v[22:23], v[18:19], v[22:23] neg_lo:[0,1] neg_hi:[0,1]
	;; [unrolled: 1-line block ×3, first 2 shown]
	v_pk_fma_f32 v[26:27], v[26:27], 2.0, v[30:31] op_sel_hi:[1,0,1] neg_lo:[0,0,1] neg_hi:[0,0,1]
	v_cmp_gt_u32_e32 vcc, 56, v38
	v_pk_fma_f32 v[16:17], v[16:17], 2.0, v[60:61] op_sel_hi:[1,0,1] neg_lo:[0,0,1] neg_hi:[0,0,1]
	v_pk_fma_f32 v[20:21], v[20:21], 2.0, v[24:25] op_sel_hi:[1,0,1] neg_lo:[0,0,1] neg_hi:[0,0,1]
	;; [unrolled: 1-line block ×4, first 2 shown]
	s_barrier
	ds_write2_b64 v9, v[26:27], v[30:31] offset1:1
	ds_write2_b64 v58, v[28:29], v[32:33] offset1:1
	;; [unrolled: 1-line block ×7, first 2 shown]
	s_and_saveexec_b64 s[2:3], vcc
	s_cbranch_execz .LBB0_15
; %bb.14:
	v_lshl_add_u32 v1, v44, 4, 0
	ds_write2_b64 v1, v[12:13], v[14:15] offset1:1
.LBB0_15:
	s_or_b64 exec, exec, s[2:3]
	v_lshlrev_b32_e32 v49, 3, v42
	v_lshlrev_b32_e32 v51, 3, v54
	;; [unrolled: 1-line block ×6, first 2 shown]
	v_sub_u32_e32 v28, v58, v49
	v_sub_u32_e32 v26, v56, v51
	;; [unrolled: 1-line block ×6, first 2 shown]
	s_waitcnt lgkmcnt(0)
	s_barrier
	ds_read_b64 v[16:17], v45
	ds_read2_b64 v[0:3], v0 offset0:72 offset1:184
	ds_read2_b64 v[4:7], v4 offset0:40 offset1:152
	;; [unrolled: 1-line block ×3, first 2 shown]
	ds_read_b64 v[18:19], v18
	ds_read_b64 v[20:21], v20
	;; [unrolled: 1-line block ×6, first 2 shown]
	ds_read_b64 v[30:31], v45 offset:12096
	v_lshlrev_b32_e32 v32, 1, v42
	v_lshlrev_b32_e32 v33, 1, v54
	;; [unrolled: 1-line block ×6, first 2 shown]
	v_lshl_add_u32 v64, v44, 3, 0
	s_and_saveexec_b64 s[2:3], vcc
	s_cbranch_execz .LBB0_17
; %bb.16:
	ds_read_b64 v[12:13], v64
	ds_read_b64 v[14:15], v45 offset:12992
.LBB0_17:
	s_or_b64 exec, exec, s[2:3]
	v_and_b32_e32 v60, 1, v38
	v_lshlrev_b32_e32 v66, 3, v60
	global_load_dwordx2 v[70:71], v66, s[8:9]
	s_movk_i32 s11, 0x7fc
	s_movk_i32 s12, 0x5fc
	;; [unrolled: 1-line block ×3, first 2 shown]
	v_and_or_b32 v74, v43, s11, v60
	v_and_or_b32 v75, v47, s12, v60
	s_waitcnt lgkmcnt(0)
	v_mov_b32_e32 v72, v15
	v_and_or_b32 v73, v34, s10, v60
	v_and_or_b32 v76, v35, s11, v60
	v_lshl_add_u32 v91, v74, 3, 0
	v_lshl_add_u32 v92, v75, 3, 0
	;; [unrolled: 1-line block ×4, first 2 shown]
	v_sub_u32_e32 v68, 0, v51
	v_lshlrev_b32_e32 v51, 1, v38
	s_movk_i32 s2, 0xfc
	v_sub_u32_e32 v69, 0, v49
	s_movk_i32 s3, 0x1fc
	v_and_or_b32 v49, v51, s2, v60
	v_sub_u32_e32 v67, 0, v61
	v_sub_u32_e32 v66, 0, v62
	;; [unrolled: 1-line block ×4, first 2 shown]
	v_and_or_b32 v63, v32, s3, v60
	v_and_or_b32 v65, v33, s10, v60
	v_lshl_add_u32 v49, v49, 3, 0
	s_barrier
	v_lshl_add_u32 v63, v63, 3, 0
	v_lshl_add_u32 v65, v65, 3, 0
	s_waitcnt vmcnt(0)
	v_pk_mul_f32 v[74:75], v[70:71], v[0:1] op_sel:[0,1]
	v_pk_mul_f32 v[76:77], v[70:71], v[2:3] op_sel:[0,1]
	;; [unrolled: 1-line block ×6, first 2 shown]
	v_pk_mul_f32 v[72:73], v[72:73], v[70:71] op_sel_hi:[0,1]
	v_pk_mul_f32 v[86:87], v[70:71], v[30:31] op_sel:[0,1]
	v_pk_fma_f32 v[88:89], v[70:71], v[0:1], v[74:75] op_sel:[0,0,1] op_sel_hi:[1,1,0]
	v_pk_fma_f32 v[0:1], v[70:71], v[0:1], v[74:75] op_sel:[0,0,1] op_sel_hi:[1,0,0] neg_lo:[1,0,0] neg_hi:[1,0,0]
	v_pk_fma_f32 v[74:75], v[70:71], v[2:3], v[76:77] op_sel:[0,0,1] op_sel_hi:[1,1,0]
	v_pk_fma_f32 v[2:3], v[70:71], v[2:3], v[76:77] op_sel:[0,0,1] op_sel_hi:[1,0,0] neg_lo:[1,0,0] neg_hi:[1,0,0]
	;; [unrolled: 2-line block ×8, first 2 shown]
	v_mov_b32_e32 v89, v1
	v_mov_b32_e32 v85, v15
	;; [unrolled: 1-line block ×8, first 2 shown]
	v_pk_add_f32 v[0:1], v[16:17], v[88:89] neg_lo:[0,1] neg_hi:[0,1]
	v_pk_add_f32 v[14:15], v[12:13], v[84:85] neg_lo:[0,1] neg_hi:[0,1]
	;; [unrolled: 1-line block ×8, first 2 shown]
	v_pk_fma_f32 v[16:17], v[16:17], 2.0, v[0:1] op_sel_hi:[1,0,1] neg_lo:[0,0,1] neg_hi:[0,0,1]
	v_pk_fma_f32 v[12:13], v[12:13], 2.0, v[14:15] op_sel_hi:[1,0,1] neg_lo:[0,0,1] neg_hi:[0,0,1]
	;; [unrolled: 1-line block ×8, first 2 shown]
	ds_write2_b64 v49, v[16:17], v[0:1] offset1:2
	ds_write2_b64 v63, v[28:29], v[2:3] offset1:2
	;; [unrolled: 1-line block ×7, first 2 shown]
	v_lshlrev_b32_e32 v49, 1, v44
	s_and_saveexec_b64 s[2:3], vcc
	s_cbranch_execz .LBB0_19
; %bb.18:
	s_movk_i32 s10, 0x6fc
	v_and_or_b32 v0, v49, s10, v60
	v_lshl_add_u32 v0, v0, 3, 0
	ds_write2_b64 v0, v[12:13], v[14:15] offset1:2
.LBB0_19:
	s_or_b64 exec, exec, s[2:3]
	v_add_u32_e32 v0, 0x1800, v45
	v_add_u32_e32 v70, v58, v69
	;; [unrolled: 1-line block ×6, first 2 shown]
	s_waitcnt lgkmcnt(0)
	s_barrier
	ds_read_b64 v[16:17], v45
	ds_read_b64 v[18:19], v69
	ds_read2_b64 v[0:3], v0 offset0:72 offset1:184
	ds_read2_b64 v[4:7], v4 offset0:40 offset1:152
	v_add_u32_e32 v67, v53, v66
	ds_read2_b64 v[8:11], v8 offset0:8 offset1:120
	v_add_u32_e32 v66, v59, v62
	v_add_u32_e32 v65, v57, v61
	ds_read_b64 v[20:21], v68
	ds_read_b64 v[22:23], v67
	;; [unrolled: 1-line block ×5, first 2 shown]
	ds_read_b64 v[30:31], v45 offset:12096
	s_and_saveexec_b64 s[2:3], vcc
	s_cbranch_execz .LBB0_21
; %bb.20:
	ds_read_b64 v[12:13], v64
	ds_read_b64 v[14:15], v45 offset:12992
.LBB0_21:
	s_or_b64 exec, exec, s[2:3]
	v_and_b32_e32 v53, 3, v38
	v_lshlrev_b32_e32 v55, 3, v53
	global_load_dwordx2 v[56:57], v55, s[8:9] offset:16
	s_movk_i32 s10, 0x3f8
	s_movk_i32 s11, 0x7f8
	s_waitcnt lgkmcnt(0)
	v_mov_b32_e32 v58, v15
	s_movk_i32 s2, 0xf8
	s_movk_i32 s12, 0x5f8
	v_and_or_b32 v59, v33, s10, v53
	v_and_or_b32 v60, v34, s10, v53
	;; [unrolled: 1-line block ×6, first 2 shown]
	v_lshl_add_u32 v84, v59, 3, 0
	v_lshl_add_u32 v85, v60, 3, 0
	;; [unrolled: 1-line block ×6, first 2 shown]
	s_movk_i32 s3, 0x1f8
	v_and_or_b32 v55, v32, s3, v53
	s_barrier
	v_lshl_add_u32 v55, v55, 3, 0
	s_waitcnt vmcnt(0)
	v_pk_mul_f32 v[58:59], v[58:59], v[56:57] op_sel_hi:[0,1]
	v_pk_mul_f32 v[60:61], v[56:57], v[0:1] op_sel:[0,1]
	v_pk_mul_f32 v[62:63], v[56:57], v[2:3] op_sel:[0,1]
	;; [unrolled: 1-line block ×7, first 2 shown]
	v_pk_fma_f32 v[82:83], v[14:15], v[56:57], v[58:59] op_sel:[0,0,1] op_sel_hi:[1,1,0]
	v_pk_fma_f32 v[14:15], v[14:15], v[56:57], v[58:59] op_sel:[0,0,1] op_sel_hi:[0,1,0] neg_lo:[1,0,0] neg_hi:[1,0,0]
	v_pk_fma_f32 v[58:59], v[56:57], v[0:1], v[60:61] op_sel:[0,0,1] op_sel_hi:[1,1,0]
	v_pk_fma_f32 v[0:1], v[56:57], v[0:1], v[60:61] op_sel:[0,0,1] op_sel_hi:[1,0,0] neg_lo:[1,0,0] neg_hi:[1,0,0]
	;; [unrolled: 2-line block ×8, first 2 shown]
	v_mov_b32_e32 v83, v15
	v_mov_b32_e32 v59, v1
	;; [unrolled: 1-line block ×8, first 2 shown]
	v_pk_add_f32 v[14:15], v[12:13], v[82:83] neg_lo:[0,1] neg_hi:[0,1]
	v_pk_add_f32 v[0:1], v[16:17], v[58:59] neg_lo:[0,1] neg_hi:[0,1]
	v_pk_add_f32 v[2:3], v[28:29], v[60:61] neg_lo:[0,1] neg_hi:[0,1]
	v_pk_add_f32 v[4:5], v[18:19], v[62:63] neg_lo:[0,1] neg_hi:[0,1]
	v_pk_add_f32 v[6:7], v[20:21], v[72:73] neg_lo:[0,1] neg_hi:[0,1]
	v_pk_add_f32 v[8:9], v[22:23], v[74:75] neg_lo:[0,1] neg_hi:[0,1]
	v_pk_add_f32 v[10:11], v[24:25], v[76:77] neg_lo:[0,1] neg_hi:[0,1]
	v_pk_add_f32 v[30:31], v[26:27], v[78:79] neg_lo:[0,1] neg_hi:[0,1]
	v_pk_fma_f32 v[12:13], v[12:13], 2.0, v[14:15] op_sel_hi:[1,0,1] neg_lo:[0,0,1] neg_hi:[0,0,1]
	v_pk_fma_f32 v[16:17], v[16:17], 2.0, v[0:1] op_sel_hi:[1,0,1] neg_lo:[0,0,1] neg_hi:[0,0,1]
	;; [unrolled: 1-line block ×8, first 2 shown]
	ds_write2_b64 v71, v[16:17], v[0:1] offset1:4
	ds_write2_b64 v55, v[28:29], v[2:3] offset1:4
	;; [unrolled: 1-line block ×7, first 2 shown]
	s_and_saveexec_b64 s[2:3], vcc
	s_cbranch_execz .LBB0_23
; %bb.22:
	s_movk_i32 s10, 0x6f8
	v_and_or_b32 v0, v49, s10, v53
	v_lshl_add_u32 v0, v0, 3, 0
	ds_write2_b64 v0, v[12:13], v[14:15] offset1:4
.LBB0_23:
	s_or_b64 exec, exec, s[2:3]
	v_add_u32_e32 v0, 0x1800, v45
	v_add_u32_e32 v4, 0x2000, v45
	;; [unrolled: 1-line block ×3, first 2 shown]
	s_waitcnt lgkmcnt(0)
	s_barrier
	ds_read_b64 v[16:17], v45
	ds_read2_b64 v[0:3], v0 offset0:72 offset1:184
	ds_read_b64 v[18:19], v69
	ds_read2_b64 v[4:7], v4 offset0:40 offset1:152
	ds_read2_b64 v[8:11], v8 offset0:8 offset1:120
	ds_read_b64 v[20:21], v68
	ds_read_b64 v[22:23], v67
	;; [unrolled: 1-line block ×5, first 2 shown]
	ds_read_b64 v[30:31], v45 offset:12096
	s_and_saveexec_b64 s[2:3], vcc
	s_cbranch_execz .LBB0_25
; %bb.24:
	ds_read_b64 v[12:13], v64
	ds_read_b64 v[14:15], v45 offset:12992
.LBB0_25:
	s_or_b64 exec, exec, s[2:3]
	v_and_b32_e32 v53, 7, v38
	v_lshlrev_b32_e32 v55, 3, v53
	global_load_dwordx2 v[56:57], v55, s[8:9] offset:48
	s_movk_i32 s3, 0x1f0
	s_movk_i32 s10, 0x3f0
	;; [unrolled: 1-line block ×3, first 2 shown]
	s_waitcnt lgkmcnt(0)
	v_mov_b32_e32 v58, v15
	s_movk_i32 s2, 0xf0
	v_and_or_b32 v32, v32, s3, v53
	v_and_or_b32 v33, v33, s10, v53
	v_and_or_b32 v34, v34, s10, v53
	v_and_or_b32 v35, v35, s11, v53
	v_and_or_b32 v15, v51, s2, v53
	v_lshl_add_u32 v55, v32, 3, 0
	v_lshl_add_u32 v71, v33, 3, 0
	;; [unrolled: 1-line block ×5, first 2 shown]
	s_movk_i32 s12, 0x5f0
	v_and_or_b32 v43, v43, s11, v53
	v_and_or_b32 v47, v47, s12, v53
	s_barrier
	v_lshl_add_u32 v43, v43, 3, 0
	v_lshl_add_u32 v47, v47, 3, 0
	s_waitcnt vmcnt(0)
	v_pk_mul_f32 v[32:33], v[58:59], v[56:57] op_sel_hi:[0,1]
	v_pk_mul_f32 v[34:35], v[56:57], v[0:1] op_sel:[0,1]
	v_pk_mul_f32 v[58:59], v[56:57], v[2:3] op_sel:[0,1]
	;; [unrolled: 1-line block ×7, first 2 shown]
	v_pk_fma_f32 v[78:79], v[14:15], v[56:57], v[32:33] op_sel:[0,0,1] op_sel_hi:[1,1,0]
	v_pk_fma_f32 v[14:15], v[14:15], v[56:57], v[32:33] op_sel:[0,0,1] op_sel_hi:[0,1,0] neg_lo:[1,0,0] neg_hi:[1,0,0]
	v_pk_fma_f32 v[32:33], v[56:57], v[0:1], v[34:35] op_sel:[0,0,1] op_sel_hi:[1,1,0]
	v_pk_fma_f32 v[0:1], v[56:57], v[0:1], v[34:35] op_sel:[0,0,1] op_sel_hi:[1,0,0] neg_lo:[1,0,0] neg_hi:[1,0,0]
	;; [unrolled: 2-line block ×8, first 2 shown]
	v_mov_b32_e32 v33, v1
	v_mov_b32_e32 v79, v15
	v_mov_b32_e32 v35, v3
	v_mov_b32_e32 v59, v5
	v_mov_b32_e32 v61, v7
	v_mov_b32_e32 v63, v9
	v_mov_b32_e32 v73, v11
	v_mov_b32_e32 v75, v31
	v_pk_add_f32 v[2:3], v[16:17], v[32:33] neg_lo:[0,1] neg_hi:[0,1]
	v_pk_add_f32 v[0:1], v[12:13], v[78:79] neg_lo:[0,1] neg_hi:[0,1]
	v_pk_add_f32 v[4:5], v[28:29], v[34:35] neg_lo:[0,1] neg_hi:[0,1]
	v_pk_add_f32 v[6:7], v[18:19], v[58:59] neg_lo:[0,1] neg_hi:[0,1]
	v_pk_add_f32 v[8:9], v[20:21], v[60:61] neg_lo:[0,1] neg_hi:[0,1]
	v_pk_add_f32 v[10:11], v[22:23], v[62:63] neg_lo:[0,1] neg_hi:[0,1]
	v_pk_add_f32 v[14:15], v[24:25], v[72:73] neg_lo:[0,1] neg_hi:[0,1]
	v_pk_add_f32 v[30:31], v[26:27], v[74:75] neg_lo:[0,1] neg_hi:[0,1]
	v_pk_fma_f32 v[16:17], v[16:17], 2.0, v[2:3] op_sel_hi:[1,0,1] neg_lo:[0,0,1] neg_hi:[0,0,1]
	v_pk_fma_f32 v[28:29], v[28:29], 2.0, v[4:5] op_sel_hi:[1,0,1] neg_lo:[0,0,1] neg_hi:[0,0,1]
	;; [unrolled: 1-line block ×7, first 2 shown]
	ds_write2_b64 v51, v[16:17], v[2:3] offset1:8
	ds_write2_b64 v55, v[28:29], v[4:5] offset1:8
	;; [unrolled: 1-line block ×7, first 2 shown]
	s_and_saveexec_b64 s[2:3], vcc
	s_cbranch_execz .LBB0_27
; %bb.26:
	s_movk_i32 s10, 0x6f0
	v_and_or_b32 v2, v49, s10, v53
	v_lshl_add_u32 v4, v2, 3, 0
	v_pk_fma_f32 v[2:3], v[12:13], 2.0, v[0:1] op_sel_hi:[1,0,1] neg_lo:[0,0,1] neg_hi:[0,0,1]
	ds_write2_b64 v4, v[2:3], v[0:1] offset1:8
.LBB0_27:
	s_or_b64 exec, exec, s[2:3]
	v_and_b32_e32 v43, 15, v38
	v_lshlrev_b32_e32 v2, 4, v43
	s_waitcnt lgkmcnt(0)
	s_barrier
	global_load_dwordx4 v[2:5], v2, s[8:9] offset:112
	v_add_u32_e32 v6, 0x2000, v45
	v_add_u32_e32 v10, 0x1400, v45
	;; [unrolled: 1-line block ×4, first 2 shown]
	ds_read_b64 v[22:23], v66
	ds_read_b64 v[24:25], v67
	;; [unrolled: 1-line block ×5, first 2 shown]
	ds_read_b64 v[32:33], v45 offset:12544
	ds_read_b64 v[34:35], v45
	ds_read2_b64 v[6:9], v6 offset0:96 offset1:208
	ds_read2_b64 v[10:13], v10 offset0:32 offset1:144
	;; [unrolled: 1-line block ×4, first 2 shown]
	s_mov_b32 s2, 0x3f5db3d7
	v_lshrrev_b32_e32 v47, 4, v38
	v_lshrrev_b32_e32 v49, 4, v42
	v_mul_u32_u24_e32 v47, 48, v47
	v_mul_lo_u32 v49, v49, 48
	v_or_b32_e32 v47, v47, v43
	v_or_b32_e32 v49, v49, v43
	v_lshl_add_u32 v47, v47, 3, 0
	v_lshl_add_u32 v49, v49, 3, 0
	s_waitcnt lgkmcnt(0)
	s_barrier
	v_lshrrev_b32_e32 v51, 4, v54
	v_mul_lo_u32 v51, v51, 48
	v_or_b32_e32 v51, v51, v43
	v_lshl_add_u32 v51, v51, 3, 0
	v_lshrrev_b32_e32 v53, 4, v52
	v_mul_lo_u32 v53, v53, 48
	v_or_b32_e32 v53, v53, v43
	v_lshl_add_u32 v53, v53, 3, 0
	s_waitcnt vmcnt(0)
	v_pk_mul_f32 v[56:57], v[2:3], v[12:13] op_sel:[0,1]
	v_pk_mul_f32 v[58:59], v[4:5], v[14:15] op_sel:[0,1]
	;; [unrolled: 1-line block ×3, first 2 shown]
	v_mov_b32_e32 v62, v5
	v_pk_mul_f32 v[72:73], v[18:19], v[2:3] op_sel:[0,1]
	v_pk_mul_f32 v[74:75], v[2:3], v[10:11] op_sel:[0,1]
	;; [unrolled: 1-line block ×3, first 2 shown]
	v_pk_fma_f32 v[78:79], v[2:3], v[12:13], v[56:57] op_sel:[0,0,1] op_sel_hi:[1,1,0]
	v_pk_fma_f32 v[12:13], v[2:3], v[12:13], v[56:57] op_sel:[0,0,1] op_sel_hi:[1,0,0] neg_lo:[1,0,0] neg_hi:[1,0,0]
	v_pk_fma_f32 v[80:81], v[4:5], v[14:15], v[58:59] op_sel:[0,0,1] op_sel_hi:[1,1,0]
	v_pk_fma_f32 v[14:15], v[4:5], v[14:15], v[58:59] op_sel:[0,0,1] op_sel_hi:[1,0,0] neg_lo:[1,0,0] neg_hi:[1,0,0]
	;; [unrolled: 2-line block ×3, first 2 shown]
	v_pk_mul_f32 v[56:57], v[32:33], v[62:63] op_sel_hi:[1,0]
	v_pk_fma_f32 v[60:61], v[18:19], v[2:3], v[72:73] op_sel:[0,0,1] op_sel_hi:[1,1,0]
	v_pk_fma_f32 v[18:19], v[18:19], v[2:3], v[72:73] op_sel:[0,0,1] op_sel_hi:[1,0,0] neg_lo:[0,0,1] neg_hi:[0,0,1]
	v_pk_mul_f32 v[58:59], v[16:17], v[62:63] op_sel_hi:[1,0]
	v_pk_fma_f32 v[62:63], v[2:3], v[10:11], v[74:75] op_sel:[0,0,1] op_sel_hi:[1,1,0]
	v_pk_fma_f32 v[10:11], v[2:3], v[10:11], v[74:75] op_sel:[0,0,1] op_sel_hi:[1,0,0] neg_lo:[1,0,0] neg_hi:[1,0,0]
	v_pk_fma_f32 v[72:73], v[4:5], v[8:9], v[76:77] op_sel:[0,0,1] op_sel_hi:[1,1,0]
	v_pk_fma_f32 v[8:9], v[4:5], v[8:9], v[76:77] op_sel:[0,0,1] op_sel_hi:[1,0,0] neg_lo:[1,0,0] neg_hi:[1,0,0]
	v_mov_b32_e32 v79, v13
	v_mov_b32_e32 v81, v15
	v_pk_fma_f32 v[12:13], v[32:33], v[4:5], v[56:57] op_sel:[0,0,1] op_sel_hi:[1,1,0]
	v_pk_fma_f32 v[14:15], v[32:33], v[4:5], v[56:57] op_sel:[0,0,1] op_sel_hi:[1,0,0] neg_lo:[0,0,1] neg_hi:[0,0,1]
	v_mov_b32_e32 v61, v19
	v_pk_fma_f32 v[18:19], v[16:17], v[4:5], v[58:59] op_sel:[0,0,1] op_sel_hi:[1,1,0]
	v_pk_fma_f32 v[16:17], v[16:17], v[4:5], v[58:59] op_sel:[0,0,1] op_sel_hi:[1,0,0] neg_lo:[0,0,1] neg_hi:[0,0,1]
	v_mov_b32_e32 v63, v11
	v_mov_b32_e32 v73, v9
	;; [unrolled: 1-line block ×5, first 2 shown]
	v_pk_add_f32 v[16:17], v[62:63], v[72:73]
	v_pk_add_f32 v[20:21], v[62:63], v[72:73] neg_lo:[0,1] neg_hi:[0,1]
	v_pk_add_f32 v[32:33], v[82:83], v[12:13]
	v_pk_add_f32 v[56:57], v[82:83], v[12:13] neg_lo:[0,1] neg_hi:[0,1]
	v_pk_fma_f32 v[16:17], v[16:17], 0.5, v[30:31] op_sel_hi:[1,0,1] neg_lo:[1,0,0] neg_hi:[1,0,0]
	v_pk_mul_f32 v[20:21], v[20:21], s[2:3] op_sel_hi:[1,0]
	v_pk_add_f32 v[14:15], v[30:31], v[62:63]
	v_pk_fma_f32 v[30:31], v[32:33], 0.5, v[24:25] op_sel_hi:[1,0,1] neg_lo:[1,0,0] neg_hi:[1,0,0]
	v_pk_mul_f32 v[32:33], v[56:57], s[2:3] op_sel_hi:[1,0]
	v_pk_add_f32 v[62:63], v[16:17], v[20:21] op_sel:[0,1] op_sel_hi:[1,0] neg_lo:[0,1] neg_hi:[0,1]
	v_pk_add_f32 v[16:17], v[16:17], v[20:21] op_sel:[0,1] op_sel_hi:[1,0]
	v_pk_mul_f32 v[20:21], v[2:3], v[22:23] op_sel:[0,1]
	v_pk_add_f32 v[56:57], v[30:31], v[32:33] op_sel:[0,1] op_sel_hi:[1,0]
	v_pk_add_f32 v[58:59], v[30:31], v[32:33] op_sel:[0,1] op_sel_hi:[1,0] neg_lo:[0,1] neg_hi:[0,1]
	v_pk_fma_f32 v[30:31], v[2:3], v[22:23], v[20:21] op_sel:[0,0,1] op_sel_hi:[1,1,0]
	v_pk_fma_f32 v[2:3], v[2:3], v[22:23], v[20:21] op_sel:[0,0,1] op_sel_hi:[1,0,0] neg_lo:[1,0,0] neg_hi:[1,0,0]
	v_pk_add_f32 v[14:15], v[14:15], v[72:73]
	v_mov_b32_e32 v31, v3
	v_pk_mul_f32 v[2:3], v[4:5], v[6:7] op_sel:[0,1]
	v_pk_add_f32 v[8:9], v[28:29], v[78:79]
	v_pk_fma_f32 v[20:21], v[4:5], v[6:7], v[2:3] op_sel:[0,0,1] op_sel_hi:[1,1,0]
	v_pk_fma_f32 v[2:3], v[4:5], v[6:7], v[2:3] op_sel:[0,0,1] op_sel_hi:[1,0,0] neg_lo:[1,0,0] neg_hi:[1,0,0]
	v_pk_add_f32 v[8:9], v[8:9], v[80:81]
	v_mov_b32_e32 v21, v3
	v_pk_add_f32 v[4:5], v[30:31], v[20:21]
	v_pk_add_f32 v[6:7], v[30:31], v[20:21] neg_lo:[0,1] neg_hi:[0,1]
	v_pk_add_f32 v[2:3], v[34:35], v[30:31]
	v_pk_fma_f32 v[4:5], v[4:5], 0.5, v[34:35] op_sel_hi:[1,0,1] neg_lo:[1,0,0] neg_hi:[1,0,0]
	v_pk_mul_f32 v[6:7], v[6:7], s[2:3] op_sel_hi:[1,0]
	v_pk_add_f32 v[2:3], v[2:3], v[20:21]
	v_pk_add_f32 v[20:21], v[4:5], v[6:7] op_sel:[0,1] op_sel_hi:[1,0] neg_lo:[0,1] neg_hi:[0,1]
	v_pk_add_f32 v[4:5], v[4:5], v[6:7] op_sel:[0,1] op_sel_hi:[1,0]
	v_mov_b32_e32 v6, v20
	v_mov_b32_e32 v7, v5
	ds_write2_b64 v47, v[2:3], v[6:7] offset1:16
	v_mov_b32_e32 v5, v21
	v_mov_b32_e32 v2, v62
	v_mov_b32_e32 v3, v17
	ds_write_b64 v47, v[4:5] offset:256
	ds_write2_b64 v49, v[14:15], v[2:3] offset1:16
	v_pk_add_f32 v[2:3], v[78:79], v[80:81]
	v_pk_add_f32 v[4:5], v[78:79], v[80:81] neg_lo:[0,1] neg_hi:[0,1]
	v_pk_fma_f32 v[2:3], v[2:3], 0.5, v[28:29] op_sel_hi:[1,0,1] neg_lo:[1,0,0] neg_hi:[1,0,0]
	v_pk_mul_f32 v[4:5], v[4:5], s[2:3] op_sel_hi:[1,0]
	v_mov_b32_e32 v17, v63
	v_pk_add_f32 v[6:7], v[2:3], v[4:5] op_sel:[0,1] op_sel_hi:[1,0] neg_lo:[0,1] neg_hi:[0,1]
	v_pk_add_f32 v[2:3], v[2:3], v[4:5] op_sel:[0,1] op_sel_hi:[1,0]
	v_mov_b32_e32 v4, v6
	v_mov_b32_e32 v5, v3
	;; [unrolled: 1-line block ×3, first 2 shown]
	ds_write_b64 v49, v[16:17] offset:256
	ds_write2_b64 v51, v[8:9], v[4:5] offset1:16
	ds_write_b64 v51, v[2:3] offset:256
	v_pk_add_f32 v[2:3], v[60:61], v[18:19]
	v_pk_add_f32 v[4:5], v[60:61], v[18:19] neg_lo:[0,1] neg_hi:[0,1]
	v_pk_fma_f32 v[2:3], v[2:3], 0.5, v[26:27] op_sel_hi:[1,0,1] neg_lo:[1,0,0] neg_hi:[1,0,0]
	v_pk_mul_f32 v[4:5], v[4:5], s[2:3] op_sel_hi:[1,0]
	v_pk_add_f32 v[10:11], v[26:27], v[60:61]
	v_pk_add_f32 v[6:7], v[2:3], v[4:5] op_sel:[0,1] op_sel_hi:[1,0] neg_lo:[0,1] neg_hi:[0,1]
	v_pk_add_f32 v[2:3], v[2:3], v[4:5] op_sel:[0,1] op_sel_hi:[1,0]
	v_pk_add_f32 v[10:11], v[10:11], v[18:19]
	v_mov_b32_e32 v5, v3
	v_mov_b32_e32 v3, v7
	ds_write_b64 v53, v[2:3] offset:256
	v_lshrrev_b32_e32 v2, 4, v50
	v_mul_lo_u32 v2, v2, 48
	v_or_b32_e32 v2, v2, v43
	v_mov_b32_e32 v4, v6
	v_lshl_add_u32 v6, v2, 3, 0
	v_pk_add_f32 v[2:3], v[24:25], v[82:83]
	ds_write2_b64 v53, v[10:11], v[4:5] offset1:16
	v_pk_add_f32 v[2:3], v[2:3], v[12:13]
	v_mov_b32_e32 v4, v58
	v_mov_b32_e32 v5, v57
	ds_write2_b64 v6, v[2:3], v[4:5] offset1:16
	v_mov_b32_e32 v57, v59
	v_add_u32_e32 v2, 0x100, v45
	v_add_u32_e32 v3, 0x80, v45
	ds_write_b64 v6, v[56:57] offset:256
	s_waitcnt lgkmcnt(0)
	s_barrier
	ds_read2_b64 v[12:15], v45 offset1:240
	ds_read2st64_b64 v[20:23], v2 offset0:5 offset1:7
	ds_read2st64_b64 v[32:35], v3 offset0:9 offset1:11
	;; [unrolled: 1-line block ×3, first 2 shown]
	v_add_u32_e32 v3, 0x180, v45
	ds_read2st64_b64 v[24:27], v3 offset0:16 offset1:18
	ds_read2st64_b64 v[16:19], v2 offset0:20 offset1:22
	ds_read_b64 v[60:61], v70
	ds_read_b64 v[62:63], v45 offset:12416
	v_cmp_gt_u32_e64 s[2:3], 16, v38
                                        ; implicit-def: $vgpr7
                                        ; implicit-def: $vgpr10
	s_and_saveexec_b64 s[10:11], s[2:3]
	s_cbranch_execz .LBB0_29
; %bb.28:
	v_add_u32_e32 v4, 0x1d80, v45
	ds_read_b64 v[56:57], v69
	v_add_u32_e32 v0, 0xe80, v45
	ds_read2_b64 v[8:11], v4 offset1:240
	v_add_u32_e32 v4, 0x2c80, v45
	ds_read2_b64 v[0:3], v0 offset1:240
	ds_read2_b64 v[4:7], v4 offset1:240
	s_waitcnt lgkmcnt(3)
	v_mov_b32_e32 v59, v57
.LBB0_29:
	s_or_b64 exec, exec, s[10:11]
	s_movk_i32 s10, 0xab
	v_mul_lo_u16_sdwa v43, v38, s10 dst_sel:DWORD dst_unused:UNUSED_PAD src0_sel:BYTE_0 src1_sel:DWORD
	v_mul_lo_u16_sdwa v53, v42, s10 dst_sel:DWORD dst_unused:UNUSED_PAD src0_sel:BYTE_0 src1_sel:DWORD
	v_lshrrev_b16_e32 v43, 13, v43
	v_lshrrev_b16_e32 v53, 13, v53
	v_mul_lo_u16_e32 v47, 48, v43
	v_mul_lo_u16_e32 v55, 48, v53
	v_sub_u16_e32 v47, v38, v47
	v_mov_b32_e32 v49, 6
	v_sub_u16_e32 v55, v42, v55
	v_mul_u32_u24_sdwa v51, v47, v49 dst_sel:DWORD dst_unused:UNUSED_PAD src0_sel:BYTE_0 src1_sel:DWORD
	v_mul_u32_u24_sdwa v49, v55, v49 dst_sel:DWORD dst_unused:UNUSED_PAD src0_sel:BYTE_0 src1_sel:DWORD
	v_lshlrev_b32_e32 v51, 3, v51
	v_lshlrev_b32_e32 v49, 3, v49
	global_load_dwordx4 v[72:75], v51, s[8:9] offset:384
	global_load_dwordx4 v[76:79], v49, s[8:9] offset:368
	;; [unrolled: 1-line block ×6, first 2 shown]
	s_waitcnt lgkmcnt(5)
	v_mov_b32_e32 v96, v35
	v_mov_b32_e32 v97, v34
	s_waitcnt lgkmcnt(4)
	v_mov_b32_e32 v98, v31
	v_mov_b32_e32 v99, v30
	;; [unrolled: 1-line block ×4, first 2 shown]
	s_waitcnt lgkmcnt(0)
	v_mov_b32_e32 v104, v63
	v_mov_b32_e32 v31, 3
	;; [unrolled: 1-line block ×3, first 2 shown]
	v_mul_u32_u24_e32 v35, 0xa80, v43
	v_mul_u32_u24_e32 v43, 0xa80, v53
	v_lshlrev_b32_sdwa v47, v31, v47 dst_sel:DWORD dst_unused:UNUSED_PAD src0_sel:DWORD src1_sel:BYTE_0
	v_lshlrev_b32_sdwa v31, v31, v55 dst_sel:DWORD dst_unused:UNUSED_PAD src0_sel:DWORD src1_sel:BYTE_0
	v_add3_u32 v43, 0, v43, v31
	v_add3_u32 v47, 0, v35, v47
	s_mov_b32 s10, 0x3f08b237
	s_mov_b32 s20, 0x3d64c772
	;; [unrolled: 1-line block ×10, first 2 shown]
	s_barrier
	s_mov_b32 s16, 0xbf5ff5aa
	s_mov_b32 s18, 0x3f3bfb3b
	s_waitcnt vmcnt(4)
	v_pk_mul_f32 v[112:113], v[78:79], v[32:33] op_sel_hi:[1,0]
	v_pk_mul_f32 v[116:117], v[76:77], v[20:21] op_sel_hi:[1,0]
	s_waitcnt vmcnt(2)
	v_pk_mul_f32 v[122:123], v[62:63], v[86:87] op_sel_hi:[0,1]
	v_pk_mul_f32 v[108:109], v[72:73], v[96:97]
	v_pk_mul_f32 v[110:111], v[74:75], v[98:99]
	v_pk_mul_f32 v[126:127], v[16:17], v[84:85] op_sel_hi:[0,1]
	v_pk_fma_f32 v[32:33], v[78:79], v[32:33], v[112:113] op_sel:[0,1,1] op_sel_hi:[1,1,0]
	v_pk_fma_f32 v[78:79], v[78:79], v[100:101], v[112:113] op_sel:[0,0,1] op_sel_hi:[1,1,0] neg_lo:[0,0,1] neg_hi:[0,0,1]
	v_pk_fma_f32 v[100:101], v[76:77], v[58:59], v[116:117] op_sel:[0,0,1] op_sel_hi:[1,1,0] neg_lo:[0,0,1] neg_hi:[0,0,1]
	v_pk_fma_f32 v[20:21], v[76:77], v[20:21], v[116:117] op_sel:[0,1,1] op_sel_hi:[1,1,0]
	v_pk_fma_f32 v[76:77], v[104:105], v[86:87], v[122:123] op_sel:[0,0,1] op_sel_hi:[1,1,0] neg_lo:[0,0,1] neg_hi:[0,0,1]
	v_pk_fma_f32 v[62:63], v[62:63], v[86:87], v[122:123] op_sel:[1,0,1] op_sel_hi:[1,1,0]
	v_mov_b32_e32 v108, v75
	v_mov_b32_e32 v32, v111
	v_pk_fma_f32 v[102:103], v[102:103], v[84:85], v[126:127] op_sel:[0,0,1] op_sel_hi:[1,1,0] neg_lo:[0,0,1] neg_hi:[0,0,1]
	v_pk_fma_f32 v[16:17], v[16:17], v[84:85], v[126:127] op_sel:[1,0,1] op_sel_hi:[1,1,0]
	v_mov_b32_e32 v101, v21
	v_mov_b32_e32 v77, v63
	v_pk_mul_f32 v[30:31], v[74:75], v[30:31] op_sel_hi:[1,0]
	v_pk_mul_f32 v[104:105], v[108:109], v[98:99]
	v_pk_fma_f32 v[74:75], v[74:75], v[98:99], v[32:33] neg_lo:[0,0,1] neg_hi:[0,0,1]
	v_mov_b32_e32 v103, v17
	v_pk_add_f32 v[16:17], v[100:101], v[76:77]
	s_waitcnt vmcnt(1)
	v_pk_mul_f32 v[98:99], v[88:89], v[14:15] op_sel_hi:[1,0]
	v_pk_mul_f32 v[120:121], v[24:25], v[82:83]
	v_mov_b32_e32 v20, v109
	v_mov_b32_e32 v16, v15
	v_pk_fma_f32 v[14:15], v[88:89], v[14:15], v[98:99] op_sel:[0,1,1] op_sel_hi:[1,1,0]
	v_pk_mul_f32 v[34:35], v[72:73], v[34:35] op_sel_hi:[1,0]
	v_mov_b32_e32 v106, v73
	v_pk_fma_f32 v[72:73], v[72:73], v[96:97], v[20:21] neg_lo:[0,0,1] neg_hi:[0,0,1]
	v_mov_b32_e32 v121, v100
	v_pk_add_f32 v[20:21], v[100:101], v[76:77] neg_lo:[0,1] neg_hi:[0,1]
	v_pk_fma_f32 v[100:101], v[88:89], v[16:17], v[98:99] op_sel:[0,0,1] op_sel_hi:[1,1,0] neg_lo:[0,0,1] neg_hi:[0,0,1]
	v_mov_b32_e32 v14, v23
	v_pk_mul_f32 v[88:89], v[90:91], v[22:23] op_sel_hi:[1,0]
	v_mov_b32_e32 v101, v15
	v_pk_fma_f32 v[14:15], v[90:91], v[14:15], v[88:89] op_sel:[0,0,1] op_sel_hi:[1,1,0] neg_lo:[0,0,1] neg_hi:[0,0,1]
	v_pk_fma_f32 v[22:23], v[90:91], v[22:23], v[88:89] op_sel:[0,1,1] op_sel_hi:[1,1,0]
	v_mov_b32_e32 v16, v27
	v_mov_b32_e32 v15, v23
	s_waitcnt vmcnt(0)
	v_pk_mul_f32 v[22:23], v[92:93], v[26:27] op_sel_hi:[1,0]
	v_pk_mul_f32 v[86:87], v[106:107], v[96:97]
	v_pk_fma_f32 v[88:89], v[92:93], v[16:17], v[22:23] op_sel:[0,0,1] op_sel_hi:[1,1,0] neg_lo:[0,0,1] neg_hi:[0,0,1]
	v_pk_fma_f32 v[22:23], v[92:93], v[26:27], v[22:23] op_sel:[0,1,1] op_sel_hi:[1,1,0]
	v_mov_b32_e32 v16, v19
	v_mov_b32_e32 v89, v23
	v_pk_mul_f32 v[22:23], v[94:95], v[18:19] op_sel_hi:[1,0]
	v_mov_b32_e32 v31, v100
	v_pk_fma_f32 v[26:27], v[94:95], v[16:17], v[22:23] op_sel:[0,0,1] op_sel_hi:[1,1,0] neg_lo:[0,0,1] neg_hi:[0,0,1]
	v_pk_fma_f32 v[18:19], v[94:95], v[18:19], v[22:23] op_sel:[0,1,1] op_sel_hi:[1,1,0]
	v_mov_b32_e32 v105, v26
	v_mov_b32_e32 v27, v19
	;; [unrolled: 1-line block ×4, first 2 shown]
	v_pk_add_f32 v[18:19], v[100:101], v[26:27]
	v_pk_add_f32 v[22:23], v[100:101], v[26:27] neg_lo:[0,1] neg_hi:[0,1]
	v_pk_add_f32 v[90:91], v[14:15], v[88:89]
	v_pk_add_f32 v[92:93], v[14:15], v[88:89] neg_lo:[0,1] neg_hi:[0,1]
	v_pk_add_f32 v[26:27], v[30:31], v[104:105]
	v_pk_add_f32 v[14:15], v[34:35], v[86:87]
	v_mov_b32_e32 v75, v26
	v_mov_b32_e32 v73, v14
	v_pk_add_f32 v[30:31], v[74:75], v[72:73] neg_lo:[0,1] neg_hi:[0,1]
	v_mov_b32_e32 v94, v91
	v_mov_b32_e32 v95, v72
	;; [unrolled: 1-line block ×4, first 2 shown]
	v_pk_add_f32 v[72:73], v[94:95], v[72:73]
	v_pk_add_f32 v[74:75], v[14:15], v[26:27]
	v_mov_b32_e32 v34, v30
	v_mov_b32_e32 v35, v23
	;; [unrolled: 1-line block ×6, first 2 shown]
	v_pk_add_f32 v[34:35], v[34:35], v[86:87] neg_lo:[0,1] neg_hi:[0,1]
	v_mov_b32_e32 v86, v22
	v_mov_b32_e32 v88, v30
	;; [unrolled: 1-line block ×3, first 2 shown]
	v_pk_add_f32 v[94:95], v[26:27], v[94:95] neg_lo:[0,1] neg_hi:[0,1]
	v_mov_b32_e32 v98, v19
	v_mov_b32_e32 v99, v73
	v_mov_b32_e32 v14, v74
	v_pk_add_f32 v[72:73], v[72:73], v[74:75]
	v_pk_mul_f32 v[34:35], v[34:35], s[10:11]
	v_pk_add_f32 v[86:87], v[86:87], v[88:89] neg_lo:[0,1] neg_hi:[0,1]
	v_pk_add_f32 v[30:31], v[30:31], v[92:93]
	v_pk_add_f32 v[98:99], v[98:99], v[14:15] neg_lo:[0,1] neg_hi:[0,1]
	v_pk_add_f32 v[12:13], v[72:73], v[12:13]
	v_pk_mul_f32 v[74:75], v[94:95], s[20:21]
	v_pk_mul_f32 v[88:89], v[86:87], s[14:15]
	v_pk_add_f32 v[30:31], v[30:31], v[22:23]
	v_pk_mul_f32 v[94:95], v[98:99], s[22:23]
	v_pk_fma_f32 v[72:73], v[72:73], s[24:25], v[12:13] op_sel_hi:[1,0,1] neg_lo:[1,0,0] neg_hi:[1,0,0]
	v_pk_fma_f32 v[98:99], v[98:99], s[22:23], v[74:75]
	v_pk_fma_f32 v[86:87], v[86:87], s[14:15], v[34:35]
	v_pk_add_f32 v[98:99], v[98:99], v[72:73]
	v_pk_fma_f32 v[86:87], v[30:31], s[12:13], v[86:87] op_sel_hi:[1,0,1]
	v_mov_b32_e32 v14, v91
	v_pk_add_f32 v[100:101], v[98:99], v[86:87]
	v_pk_add_f32 v[86:87], v[98:99], v[86:87] neg_lo:[0,1] neg_hi:[0,1]
	v_mov_b32_e32 v98, v100
	v_mov_b32_e32 v99, v87
	;; [unrolled: 1-line block ×3, first 2 shown]
	v_pk_mul_f32 v[118:119], v[28:29], v[80:81] op_sel:[1,0] op_sel_hi:[0,1]
	ds_write2_b64 v47, v[12:13], v[98:99] offset1:48
	v_pk_add_f32 v[12:13], v[92:93], v[22:23] neg_lo:[0,1] neg_hi:[0,1]
	v_pk_add_f32 v[14:15], v[14:15], v[26:27] neg_lo:[0,1] neg_hi:[0,1]
	v_mov_b32_e32 v18, v94
	v_mov_b32_e32 v19, v75
	;; [unrolled: 1-line block ×8, first 2 shown]
	v_pk_fma_f32 v[18:19], v[14:15], s[18:19], v[18:19] op_sel_hi:[1,0,1] neg_lo:[1,0,1] neg_hi:[1,0,1]
	v_pk_fma_f32 v[22:23], v[12:13], s[16:17], v[22:23] op_sel_hi:[1,0,1] neg_lo:[1,0,1] neg_hi:[1,0,1]
	;; [unrolled: 1-line block ×4, first 2 shown]
	v_pk_mul_f32 v[114:115], v[28:29], v[80:81]
	v_pk_mul_f32 v[124:125], v[24:25], v[82:83] op_sel:[1,0] op_sel_hi:[0,1]
	v_pk_mul_f32 v[106:107], v[28:29], v[110:111] op_sel:[1,0] op_sel_hi:[0,1]
	;; [unrolled: 1-line block ×3, first 2 shown]
	v_pk_add_f32 v[18:19], v[18:19], v[72:73]
	v_pk_fma_f32 v[22:23], v[30:31], s[12:13], v[22:23] op_sel_hi:[1,0,1]
	v_pk_add_f32 v[14:15], v[14:15], v[72:73]
	v_pk_fma_f32 v[12:13], v[30:31], s[12:13], v[12:13] op_sel_hi:[1,0,1]
	v_mov_b32_e32 v58, v119
	v_mov_b32_e32 v62, v125
	;; [unrolled: 1-line block ×6, first 2 shown]
	v_pk_add_f32 v[26:27], v[18:19], v[22:23]
	v_pk_add_f32 v[18:19], v[18:19], v[22:23] neg_lo:[0,1] neg_hi:[0,1]
	v_pk_add_f32 v[30:31], v[14:15], v[12:13] neg_lo:[0,1] neg_hi:[0,1]
	v_pk_add_f32 v[12:13], v[14:15], v[12:13]
	v_pk_fma_f32 v[28:29], v[28:29], v[80:81], v[58:59] op_sel:[1,0,0] op_sel_hi:[0,1,1] neg_lo:[0,0,1] neg_hi:[0,0,1]
	v_pk_fma_f32 v[24:25], v[24:25], v[82:83], v[62:63] op_sel:[1,0,0] op_sel_hi:[0,1,1] neg_lo:[0,0,1] neg_hi:[0,0,1]
	v_pk_add_f32 v[32:33], v[78:79], v[102:103]
	v_pk_add_f32 v[62:63], v[78:79], v[102:103] neg_lo:[0,1] neg_hi:[0,1]
	v_pk_add_f32 v[76:77], v[120:121], v[108:109]
	v_pk_add_f32 v[78:79], v[114:115], v[106:107]
	v_mov_b32_e32 v22, v26
	v_mov_b32_e32 v23, v19
	;; [unrolled: 1-line block ×8, first 2 shown]
	ds_write2_b64 v47, v[22:23], v[14:15] offset0:96 offset1:144
	ds_write2_b64 v47, v[12:13], v[18:19] offset0:192 offset1:240
	v_mov_b32_e32 v12, v33
	v_mov_b32_e32 v13, v28
	;; [unrolled: 1-line block ×4, first 2 shown]
	v_pk_add_f32 v[84:85], v[24:25], v[28:29] neg_lo:[0,1] neg_hi:[0,1]
	v_pk_add_f32 v[12:13], v[12:13], v[14:15]
	v_pk_add_f32 v[14:15], v[78:79], v[76:77]
	v_mov_b32_e32 v81, v21
	v_mov_b32_e32 v82, v62
	;; [unrolled: 1-line block ×7, first 2 shown]
	v_pk_add_f32 v[80:81], v[80:81], v[82:83] neg_lo:[0,1] neg_hi:[0,1]
	v_mov_b32_e32 v82, v20
	v_mov_b32_e32 v96, v84
	;; [unrolled: 1-line block ×3, first 2 shown]
	v_pk_add_f32 v[18:19], v[76:77], v[18:19] neg_lo:[0,1] neg_hi:[0,1]
	v_mov_b32_e32 v22, v17
	v_mov_b32_e32 v23, v13
	v_mov_b32_e32 v78, v14
	v_pk_add_f32 v[12:13], v[12:13], v[14:15]
	v_pk_mul_f32 v[80:81], v[80:81], s[10:11]
	v_pk_add_f32 v[82:83], v[82:83], v[96:97] neg_lo:[0,1] neg_hi:[0,1]
	v_pk_add_f32 v[84:85], v[84:85], v[62:63]
	v_pk_add_f32 v[22:23], v[22:23], v[78:79] neg_lo:[0,1] neg_hi:[0,1]
	v_pk_add_f32 v[14:15], v[12:13], v[60:61]
	v_pk_mul_f32 v[18:19], v[18:19], s[20:21]
	v_pk_add_f32 v[84:85], v[84:85], v[20:21]
	v_pk_mul_f32 v[24:25], v[22:23], s[22:23]
	v_pk_fma_f32 v[12:13], v[12:13], s[24:25], v[14:15] op_sel_hi:[1,0,1] neg_lo:[1,0,0] neg_hi:[1,0,0]
	v_pk_fma_f32 v[22:23], v[22:23], s[22:23], v[18:19]
	v_pk_fma_f32 v[26:27], v[82:83], s[14:15], v[80:81]
	v_pk_add_f32 v[22:23], v[22:23], v[12:13]
	v_pk_fma_f32 v[26:27], v[84:85], s[12:13], v[26:27] op_sel_hi:[1,0,1]
	v_pk_mul_f32 v[96:97], v[82:83], s[14:15]
	v_pk_add_f32 v[28:29], v[22:23], v[26:27]
	v_pk_add_f32 v[22:23], v[22:23], v[26:27] neg_lo:[0,1] neg_hi:[0,1]
	v_mov_b32_e32 v87, v101
	v_mov_b32_e32 v26, v28
	;; [unrolled: 1-line block ×5, first 2 shown]
	ds_write_b64 v47, v[86:87] offset:2304
	ds_write2_b64 v43, v[14:15], v[26:27] offset1:48
	v_pk_add_f32 v[14:15], v[62:63], v[20:21] neg_lo:[0,1] neg_hi:[0,1]
	v_pk_add_f32 v[16:17], v[78:79], v[76:77] neg_lo:[0,1] neg_hi:[0,1]
	v_mov_b32_e32 v20, v24
	v_mov_b32_e32 v21, v19
	;; [unrolled: 1-line block ×6, first 2 shown]
	v_pk_fma_f32 v[20:21], v[16:17], s[18:19], v[20:21] op_sel_hi:[1,0,1] neg_lo:[1,0,1] neg_hi:[1,0,1]
	v_pk_fma_f32 v[26:27], v[14:15], s[16:17], v[26:27] op_sel_hi:[1,0,1] neg_lo:[1,0,1] neg_hi:[1,0,1]
	;; [unrolled: 1-line block ×4, first 2 shown]
	v_pk_add_f32 v[20:21], v[20:21], v[12:13]
	v_pk_fma_f32 v[26:27], v[84:85], s[12:13], v[26:27] op_sel_hi:[1,0,1]
	v_pk_add_f32 v[12:13], v[16:17], v[12:13]
	v_pk_fma_f32 v[14:15], v[84:85], s[12:13], v[14:15] op_sel_hi:[1,0,1]
	v_pk_add_f32 v[30:31], v[20:21], v[26:27]
	v_pk_add_f32 v[20:21], v[20:21], v[26:27] neg_lo:[0,1] neg_hi:[0,1]
	v_pk_add_f32 v[16:17], v[12:13], v[14:15] neg_lo:[0,1] neg_hi:[0,1]
	v_pk_add_f32 v[12:13], v[12:13], v[14:15]
	v_mov_b32_e32 v26, v30
	v_mov_b32_e32 v27, v21
	;; [unrolled: 1-line block ×7, first 2 shown]
	ds_write2_b64 v43, v[26:27], v[14:15] offset0:96 offset1:144
	ds_write2_b64 v43, v[12:13], v[20:21] offset0:192 offset1:240
	ds_write_b64 v43, v[22:23] offset:2304
	s_and_saveexec_b64 s[24:25], s[2:3]
	s_cbranch_execz .LBB0_31
; %bb.30:
	s_mov_b32 s2, 0xaaab
	v_mul_u32_u24_sdwa v12, v54, s2 dst_sel:DWORD dst_unused:UNUSED_PAD src0_sel:WORD_0 src1_sel:DWORD
	v_lshrrev_b32_e32 v12, 21, v12
	v_mul_lo_u16_e32 v12, 48, v12
	v_sub_u16_e32 v29, v54, v12
	v_mul_u32_u24_e32 v12, 6, v29
	v_lshlrev_b32_e32 v24, 3, v12
	global_load_dwordx4 v[12:15], v24, s[8:9] offset:368
	global_load_dwordx4 v[16:19], v24, s[8:9] offset:400
	;; [unrolled: 1-line block ×3, first 2 shown]
	v_mov_b32_e32 v24, v11
	v_mov_b32_e32 v25, v10
	;; [unrolled: 1-line block ×12, first 2 shown]
	v_lshl_add_u32 v35, v29, 3, 0
	v_mov_b32_e32 v57, v59
	s_mov_b32 s2, 0xbf955555
	s_waitcnt vmcnt(2)
	v_pk_mul_f32 v[0:1], v[0:1], v[12:13] op_sel_hi:[0,1]
	s_waitcnt vmcnt(1)
	v_pk_mul_f32 v[6:7], v[6:7], v[18:19] op_sel_hi:[0,1]
	s_waitcnt vmcnt(0)
	v_mov_b32_e32 v74, v23
	v_mov_b32_e32 v76, v21
	v_pk_mul_f32 v[2:3], v[2:3], v[14:15] op_sel_hi:[0,1]
	v_pk_mul_f32 v[4:5], v[4:5], v[16:17] op_sel_hi:[0,1]
	v_pk_mul_f32 v[10:11], v[10:11], v[22:23]
	v_pk_mul_f32 v[8:9], v[8:9], v[20:21]
	;; [unrolled: 1-line block ×6, first 2 shown]
	v_pk_fma_f32 v[32:33], v[32:33], v[18:19], v[6:7] op_sel:[0,0,1] op_sel_hi:[1,1,0] neg_lo:[0,0,1] neg_hi:[0,0,1]
	v_pk_fma_f32 v[6:7], v[34:35], v[18:19], v[6:7] op_sel:[0,0,1] op_sel_hi:[0,1,0]
	v_pk_fma_f32 v[18:19], v[28:29], v[12:13], v[0:1] op_sel:[0,0,1] op_sel_hi:[1,1,0] neg_lo:[0,0,1] neg_hi:[0,0,1]
	v_pk_fma_f32 v[0:1], v[30:31], v[12:13], v[0:1] op_sel:[0,0,1] op_sel_hi:[0,1,0]
	v_pk_fma_f32 v[12:13], v[62:63], v[16:17], v[4:5] op_sel:[0,0,1] op_sel_hi:[1,1,0] neg_lo:[0,0,1] neg_hi:[0,0,1]
	v_pk_fma_f32 v[4:5], v[72:73], v[16:17], v[4:5] op_sel:[0,0,1] op_sel_hi:[0,1,0]
	v_pk_fma_f32 v[16:17], v[58:59], v[14:15], v[2:3] op_sel:[0,0,1] op_sel_hi:[1,1,0] neg_lo:[0,0,1] neg_hi:[0,0,1]
	v_pk_fma_f32 v[2:3], v[60:61], v[14:15], v[2:3] op_sel:[0,0,1] op_sel_hi:[0,1,0]
	v_mov_b32_e32 v78, v79
	v_mov_b32_e32 v80, v81
	;; [unrolled: 1-line block ×10, first 2 shown]
	v_pk_fma_f32 v[14:15], v[26:27], v[20:21], v[78:79] neg_lo:[0,0,1] neg_hi:[0,0,1]
	v_pk_fma_f32 v[20:21], v[24:25], v[22:23], v[80:81] neg_lo:[0,0,1] neg_hi:[0,0,1]
	v_pk_add_f32 v[0:1], v[18:19], v[32:33]
	v_pk_add_f32 v[2:3], v[16:17], v[12:13]
	;; [unrolled: 1-line block ×4, first 2 shown]
	v_pk_add_f32 v[6:7], v[16:17], v[12:13] neg_lo:[0,1] neg_hi:[0,1]
	v_mov_b32_e32 v13, v14
	v_mov_b32_e32 v17, v20
	;; [unrolled: 1-line block ×6, first 2 shown]
	v_pk_add_f32 v[4:5], v[18:19], v[32:33] neg_lo:[0,1] neg_hi:[0,1]
	v_pk_add_f32 v[26:27], v[8:9], v[10:11]
	v_pk_add_f32 v[14:15], v[20:21], v[14:15] neg_lo:[0,1] neg_hi:[0,1]
	v_pk_add_f32 v[12:13], v[12:13], v[16:17]
	v_mov_b32_e32 v25, v5
	v_mov_b32_e32 v22, v14
	v_pk_add_f32 v[16:17], v[14:15], v[6:7]
	v_mov_b32_e32 v24, v14
	v_mov_b32_e32 v14, v6
	;; [unrolled: 3-line block ×3, first 2 shown]
	v_mov_b32_e32 v18, v4
	v_mov_b32_e32 v23, v7
	;; [unrolled: 1-line block ×3, first 2 shown]
	v_pk_add_f32 v[14:15], v[24:25], v[14:15] neg_lo:[0,1] neg_hi:[0,1]
	v_pk_add_f32 v[24:25], v[12:13], v[26:27] neg_lo:[0,1] neg_hi:[0,1]
	v_mov_b32_e32 v27, v11
	v_mov_b32_e32 v12, v3
	v_pk_add_f32 v[18:19], v[18:19], v[22:23] neg_lo:[0,1] neg_hi:[0,1]
	v_pk_add_f32 v[12:13], v[26:27], v[12:13] neg_lo:[0,1] neg_hi:[0,1]
	v_pk_mul_f32 v[28:29], v[18:19], s[14:15]
	v_pk_mul_f32 v[14:15], v[14:15], s[10:11]
	;; [unrolled: 1-line block ×4, first 2 shown]
	v_mov_b32_e32 v8, v3
	v_mov_b32_e32 v10, v1
	v_pk_add_f32 v[16:17], v[16:17], v[4:5]
	v_pk_add_f32 v[22:23], v[56:57], v[20:21]
	v_pk_fma_f32 v[18:19], v[18:19], s[14:15], v[14:15]
	v_pk_fma_f32 v[24:25], v[24:25], s[22:23], v[12:13]
	v_pk_add_f32 v[4:5], v[6:7], v[4:5] neg_lo:[0,1] neg_hi:[0,1]
	v_mov_b32_e32 v6, v28
	v_mov_b32_e32 v7, v15
	v_pk_add_f32 v[0:1], v[8:9], v[10:11] neg_lo:[0,1] neg_hi:[0,1]
	v_mov_b32_e32 v2, v30
	v_mov_b32_e32 v3, v13
	;; [unrolled: 1-line block ×4, first 2 shown]
	v_pk_fma_f32 v[20:21], v[20:21], s[2:3], v[22:23] op_sel_hi:[1,0,1]
	v_pk_fma_f32 v[6:7], v[4:5], s[16:17], v[6:7] op_sel_hi:[1,0,1] neg_lo:[1,0,1] neg_hi:[1,0,1]
	v_pk_fma_f32 v[2:3], v[0:1], s[18:19], v[2:3] op_sel_hi:[1,0,1] neg_lo:[1,0,1] neg_hi:[1,0,1]
	;; [unrolled: 1-line block ×4, first 2 shown]
	v_pk_fma_f32 v[18:19], v[16:17], s[12:13], v[18:19] op_sel_hi:[1,0,1]
	v_pk_add_f32 v[24:25], v[24:25], v[20:21]
	v_pk_fma_f32 v[6:7], v[16:17], s[12:13], v[6:7] op_sel_hi:[1,0,1]
	v_pk_add_f32 v[2:3], v[2:3], v[20:21]
	v_pk_fma_f32 v[4:5], v[16:17], s[12:13], v[4:5] op_sel_hi:[1,0,1]
	v_pk_add_f32 v[0:1], v[0:1], v[20:21]
	v_pk_add_f32 v[26:27], v[24:25], v[18:19]
	v_pk_add_f32 v[18:19], v[24:25], v[18:19] neg_lo:[0,1] neg_hi:[0,1]
	v_pk_add_f32 v[8:9], v[2:3], v[6:7]
	v_pk_add_f32 v[2:3], v[2:3], v[6:7] neg_lo:[0,1] neg_hi:[0,1]
	v_pk_add_f32 v[10:11], v[0:1], v[4:5] neg_lo:[0,1] neg_hi:[0,1]
	v_pk_add_f32 v[0:1], v[0:1], v[4:5]
	v_mov_b32_e32 v24, v26
	v_mov_b32_e32 v25, v19
	v_add_u32_e32 v19, 0x2800, v35
	v_mov_b32_e32 v6, v8
	v_mov_b32_e32 v7, v3
	v_mov_b32_e32 v4, v10
	v_mov_b32_e32 v5, v1
	ds_write2_b64 v19, v[22:23], v[24:25] offset0:64 offset1:112
	ds_write2_b64 v19, v[6:7], v[4:5] offset0:160 offset1:208
	v_mov_b32_e32 v1, v11
	v_mov_b32_e32 v3, v9
	v_add_u32_e32 v4, 0x3000, v35
	v_mov_b32_e32 v19, v27
	ds_write2_b64 v4, v[0:1], v[2:3] offset1:48
	ds_write_b64 v35, v[18:19] offset:13056
.LBB0_31:
	s_or_b64 exec, exec, s[24:25]
	v_lshlrev_b32_e32 v0, 2, v38
	v_mov_b32_e32 v1, 0
	v_lshl_add_u64 v[10:11], v[0:1], 3, s[8:9]
	s_waitcnt lgkmcnt(0)
	s_barrier
	global_load_dwordx4 v[2:5], v[10:11], off offset:2672
	global_load_dwordx4 v[6:9], v[10:11], off offset:2688
	v_lshlrev_b32_e32 v0, 2, v42
	v_lshl_add_u64 v[18:19], v[0:1], 3, s[8:9]
	v_lshlrev_b32_e32 v0, 2, v54
	v_lshl_add_u64 v[26:27], v[0:1], 3, s[8:9]
	global_load_dwordx4 v[10:13], v[18:19], off offset:2672
	global_load_dwordx4 v[14:17], v[18:19], off offset:2688
	s_nop 0
	global_load_dwordx4 v[18:21], v[26:27], off offset:2672
	global_load_dwordx4 v[22:25], v[26:27], off offset:2688
	ds_read_b64 v[34:35], v68
	ds_read_b64 v[72:73], v65
	v_add_u32_e32 v30, 0x2800, v45
	v_add_u32_e32 v26, 0xc00, v45
	v_add_u32_e32 v0, 0x1800, v45
	v_add_u32_e32 v43, 0x1100, v45
	v_add_u32_e32 v47, 0x2000, v45
	ds_read_b64 v[74:75], v69
	ds_read_b64 v[76:77], v70
	ds_read_b64 v[78:79], v45 offset:12544
	ds_read_b64 v[80:81], v45
	ds_read2_b32 v[82:83], v26 offset0:128 offset1:129
	ds_read2_b64 v[26:29], v0 offset0:128 offset1:240
	ds_read2_b64 v[30:33], v30 offset0:64 offset1:176
	;; [unrolled: 1-line block ×4, first 2 shown]
	s_waitcnt lgkmcnt(4)
	v_mov_b32_e32 v0, v83
	s_waitcnt lgkmcnt(0)
	s_barrier
	s_mov_b32 s10, 0x3f737871
	s_mov_b32 s12, 0x3f167918
	;; [unrolled: 1-line block ×3, first 2 shown]
	s_add_u32 s8, s8, 0x3470
	s_addc_u32 s9, s9, 0
	s_waitcnt vmcnt(5)
	v_pk_mul_f32 v[84:85], v[2:3], v[34:35] op_sel:[0,1]
	v_pk_mul_f32 v[86:87], v[4:5], v[72:73] op_sel:[0,1]
	s_waitcnt vmcnt(4)
	v_pk_mul_f32 v[88:89], v[6:7], v[28:29] op_sel:[0,1]
	v_pk_mul_f32 v[90:91], v[8:9], v[30:31] op_sel:[0,1]
	v_pk_fma_f32 v[98:99], v[2:3], v[34:35], v[84:85] op_sel:[0,0,1] op_sel_hi:[1,1,0]
	v_pk_fma_f32 v[2:3], v[2:3], v[34:35], v[84:85] op_sel:[0,0,1] op_sel_hi:[1,0,0] neg_lo:[1,0,0] neg_hi:[1,0,0]
	v_pk_fma_f32 v[34:35], v[4:5], v[72:73], v[86:87] op_sel:[0,0,1] op_sel_hi:[1,1,0]
	v_pk_fma_f32 v[4:5], v[4:5], v[72:73], v[86:87] op_sel:[0,0,1] op_sel_hi:[1,0,0] neg_lo:[1,0,0] neg_hi:[1,0,0]
	;; [unrolled: 2-line block ×3, first 2 shown]
	v_pk_fma_f32 v[28:29], v[8:9], v[30:31], v[90:91] op_sel:[0,0,1] op_sel_hi:[1,1,0]
	v_mov_b32_e32 v99, v3
	v_pk_fma_f32 v[8:9], v[8:9], v[30:31], v[90:91] op_sel:[0,0,1] op_sel_hi:[1,0,0] neg_lo:[1,0,0] neg_hi:[1,0,0]
	s_waitcnt vmcnt(3)
	v_pk_mul_f32 v[92:93], v[0:1], v[10:11] op_sel_hi:[0,1]
	v_mov_b32_e32 v0, v13
	v_mov_b32_e32 v35, v5
	;; [unrolled: 1-line block ×3, first 2 shown]
	v_pk_add_f32 v[8:9], v[80:81], v[98:99]
	s_waitcnt vmcnt(1)
	v_pk_mul_f32 v[84:85], v[56:57], v[18:19] op_sel:[0,1]
	v_mov_b32_e32 v2, v21
	s_waitcnt vmcnt(0)
	v_mov_b32_e32 v4, v25
	v_pk_fma_f32 v[88:89], v[10:11], v[82:83], v[92:93] op_sel:[0,0,1] op_sel_hi:[1,1,0]
	v_pk_fma_f32 v[10:11], v[10:11], v[82:83], v[92:93] op_sel:[0,0,1] op_sel_hi:[1,0,0] neg_lo:[1,0,0] neg_hi:[1,0,0]
	v_pk_mul_f32 v[82:83], v[58:59], v[0:1] op_sel_hi:[1,0]
	v_mov_b32_e32 v73, v7
	v_pk_add_f32 v[8:9], v[8:9], v[34:35]
	v_pk_mul_f32 v[94:95], v[60:61], v[14:15] op_sel:[0,1]
	v_mov_b32_e32 v96, v17
	v_pk_fma_f32 v[6:7], v[56:57], v[18:19], v[84:85] op_sel:[0,0,1] op_sel_hi:[1,1,0]
	v_pk_fma_f32 v[18:19], v[56:57], v[18:19], v[84:85] op_sel:[0,0,1] op_sel_hi:[1,0,0] neg_lo:[0,0,1] neg_hi:[0,0,1]
	v_pk_mul_f32 v[2:3], v[26:27], v[2:3] op_sel_hi:[1,0]
	v_pk_mul_f32 v[4:5], v[78:79], v[4:5] op_sel_hi:[1,0]
	v_mov_b32_e32 v89, v11
	v_pk_fma_f32 v[10:11], v[58:59], v[12:13], v[82:83] op_sel:[0,0,1] op_sel_hi:[1,1,0]
	v_pk_fma_f32 v[12:13], v[58:59], v[12:13], v[82:83] op_sel:[0,0,1] op_sel_hi:[1,0,0] neg_lo:[0,0,1] neg_hi:[0,0,1]
	v_pk_add_f32 v[8:9], v[8:9], v[72:73]
	v_pk_mul_f32 v[86:87], v[62:63], v[22:23] op_sel:[0,1]
	v_pk_fma_f32 v[92:93], v[60:61], v[14:15], v[94:95] op_sel:[0,0,1] op_sel_hi:[1,1,0]
	v_pk_fma_f32 v[14:15], v[60:61], v[14:15], v[94:95] op_sel:[0,0,1] op_sel_hi:[1,0,0] neg_lo:[0,0,1] neg_hi:[0,0,1]
	v_pk_mul_f32 v[60:61], v[32:33], v[96:97] op_sel_hi:[1,0]
	v_mov_b32_e32 v7, v19
	v_pk_fma_f32 v[18:19], v[26:27], v[20:21], v[2:3] op_sel:[0,0,1] op_sel_hi:[1,1,0]
	v_pk_fma_f32 v[2:3], v[26:27], v[20:21], v[2:3] op_sel:[0,0,1] op_sel_hi:[1,0,0] neg_lo:[0,0,1] neg_hi:[0,0,1]
	v_pk_fma_f32 v[20:21], v[78:79], v[24:25], v[4:5] op_sel:[0,0,1] op_sel_hi:[1,1,0]
	v_pk_fma_f32 v[4:5], v[78:79], v[24:25], v[4:5] op_sel:[0,0,1] op_sel_hi:[1,0,0] neg_lo:[0,0,1] neg_hi:[0,0,1]
	v_mov_b32_e32 v11, v13
	v_pk_add_f32 v[12:13], v[76:77], v[88:89]
	v_pk_add_f32 v[8:9], v[8:9], v[28:29]
	v_pk_fma_f32 v[56:57], v[62:63], v[22:23], v[86:87] op_sel:[0,0,1] op_sel_hi:[1,1,0]
	v_pk_fma_f32 v[22:23], v[62:63], v[22:23], v[86:87] op_sel:[0,0,1] op_sel_hi:[1,0,0] neg_lo:[0,0,1] neg_hi:[0,0,1]
	v_mov_b32_e32 v93, v15
	v_pk_fma_f32 v[14:15], v[32:33], v[16:17], v[60:61] op_sel:[0,0,1] op_sel_hi:[1,1,0]
	v_pk_fma_f32 v[16:17], v[32:33], v[16:17], v[60:61] op_sel:[0,0,1] op_sel_hi:[1,0,0] neg_lo:[0,0,1] neg_hi:[0,0,1]
	v_mov_b32_e32 v21, v5
	v_pk_add_f32 v[4:5], v[12:13], v[10:11]
	ds_write_b64 v45, v[8:9]
	v_pk_add_f32 v[8:9], v[34:35], v[72:73]
	v_pk_add_f32 v[12:13], v[98:99], v[28:29] neg_lo:[0,1] neg_hi:[0,1]
	v_mov_b32_e32 v57, v23
	v_mov_b32_e32 v15, v17
	v_pk_fma_f32 v[8:9], v[8:9], 0.5, v[80:81] op_sel_hi:[1,0,1] neg_lo:[1,0,0] neg_hi:[1,0,0]
	v_pk_mul_f32 v[16:17], v[12:13], s[10:11] op_sel_hi:[1,0]
	v_pk_add_f32 v[22:23], v[34:35], v[72:73] neg_lo:[0,1] neg_hi:[0,1]
	v_pk_add_f32 v[26:27], v[98:99], v[34:35] neg_lo:[0,1] neg_hi:[0,1]
	v_pk_add_f32 v[30:31], v[28:29], v[72:73] neg_lo:[0,1] neg_hi:[0,1]
	v_pk_mul_f32 v[24:25], v[22:23], s[12:13] op_sel_hi:[1,0]
	v_pk_add_f32 v[26:27], v[26:27], v[30:31]
	v_pk_add_f32 v[30:31], v[8:9], v[16:17] op_sel:[0,1] op_sel_hi:[1,0] neg_lo:[0,1] neg_hi:[0,1]
	v_pk_add_f32 v[8:9], v[8:9], v[16:17] op_sel:[0,1] op_sel_hi:[1,0]
	v_pk_add_f32 v[16:17], v[30:31], v[24:25] op_sel:[0,1] op_sel_hi:[1,0] neg_lo:[0,1] neg_hi:[0,1]
	v_pk_add_f32 v[8:9], v[8:9], v[24:25] op_sel:[0,1] op_sel_hi:[1,0]
	v_mov_b32_e32 v24, v16
	v_mov_b32_e32 v25, v9
	v_pk_fma_f32 v[24:25], v[26:27], s[2:3], v[24:25] op_sel_hi:[1,0,1]
	ds_write_b64 v45, v[24:25] offset:2688
	v_pk_add_f32 v[24:25], v[98:99], v[28:29]
	v_pk_add_f32 v[30:31], v[34:35], v[98:99] neg_lo:[0,1] neg_hi:[0,1]
	v_pk_fma_f32 v[24:25], v[24:25], 0.5, v[80:81] op_sel_hi:[1,0,1] neg_lo:[1,0,0] neg_hi:[1,0,0]
	v_pk_add_f32 v[28:29], v[72:73], v[28:29] neg_lo:[0,1] neg_hi:[0,1]
	v_pk_mul_f32 v[22:23], v[22:23], s[10:11] op_sel_hi:[1,0]
	v_pk_add_f32 v[28:29], v[30:31], v[28:29]
	v_pk_mul_f32 v[12:13], v[12:13], s[12:13] op_sel_hi:[1,0]
	v_pk_add_f32 v[30:31], v[24:25], v[22:23] op_sel:[0,1] op_sel_hi:[1,0]
	v_pk_add_f32 v[22:23], v[24:25], v[22:23] op_sel:[0,1] op_sel_hi:[1,0] neg_lo:[0,1] neg_hi:[0,1]
	v_pk_add_f32 v[4:5], v[4:5], v[92:93]
	v_pk_add_f32 v[22:23], v[22:23], v[12:13] op_sel:[0,1] op_sel_hi:[1,0]
	v_pk_add_f32 v[12:13], v[30:31], v[12:13] op_sel:[0,1] op_sel_hi:[1,0] neg_lo:[0,1] neg_hi:[0,1]
	v_mov_b32_e32 v25, v23
	v_mov_b32_e32 v24, v12
	;; [unrolled: 1-line block ×4, first 2 shown]
	v_pk_add_f32 v[4:5], v[4:5], v[14:15]
	v_pk_fma_f32 v[24:25], v[28:29], s[2:3], v[24:25] op_sel_hi:[1,0,1]
	v_pk_fma_f32 v[12:13], v[28:29], s[2:3], v[22:23] op_sel_hi:[1,0,1]
	;; [unrolled: 1-line block ×3, first 2 shown]
	ds_write_b64 v45, v[24:25] offset:5376
	ds_write_b64 v45, v[12:13] offset:8064
	;; [unrolled: 1-line block ×3, first 2 shown]
	ds_write_b64 v70, v[4:5]
	v_pk_add_f32 v[4:5], v[10:11], v[92:93]
	v_pk_add_f32 v[8:9], v[88:89], v[14:15] neg_lo:[0,1] neg_hi:[0,1]
	v_pk_fma_f32 v[4:5], v[4:5], 0.5, v[76:77] op_sel_hi:[1,0,1] neg_lo:[1,0,0] neg_hi:[1,0,0]
	v_pk_mul_f32 v[12:13], v[8:9], s[10:11] op_sel_hi:[1,0]
	v_pk_add_f32 v[16:17], v[10:11], v[92:93] neg_lo:[0,1] neg_hi:[0,1]
	v_pk_add_f32 v[24:25], v[88:89], v[10:11] neg_lo:[0,1] neg_hi:[0,1]
	;; [unrolled: 1-line block ×3, first 2 shown]
	v_pk_mul_f32 v[22:23], v[16:17], s[12:13] op_sel_hi:[1,0]
	v_pk_add_f32 v[24:25], v[24:25], v[26:27]
	v_pk_add_f32 v[26:27], v[4:5], v[12:13] op_sel:[0,1] op_sel_hi:[1,0] neg_lo:[0,1] neg_hi:[0,1]
	v_pk_add_f32 v[4:5], v[4:5], v[12:13] op_sel:[0,1] op_sel_hi:[1,0]
	v_pk_add_f32 v[12:13], v[26:27], v[22:23] op_sel:[0,1] op_sel_hi:[1,0] neg_lo:[0,1] neg_hi:[0,1]
	v_pk_add_f32 v[4:5], v[4:5], v[22:23] op_sel:[0,1] op_sel_hi:[1,0]
	v_mov_b32_e32 v22, v12
	v_mov_b32_e32 v23, v5
	v_pk_fma_f32 v[22:23], v[24:25], s[2:3], v[22:23] op_sel_hi:[1,0,1]
	ds_write_b64 v70, v[22:23] offset:2688
	v_pk_add_f32 v[22:23], v[88:89], v[14:15]
	v_pk_add_f32 v[10:11], v[10:11], v[88:89] neg_lo:[0,1] neg_hi:[0,1]
	v_pk_add_f32 v[14:15], v[92:93], v[14:15] neg_lo:[0,1] neg_hi:[0,1]
	v_pk_fma_f32 v[22:23], v[22:23], 0.5, v[76:77] op_sel_hi:[1,0,1] neg_lo:[1,0,0] neg_hi:[1,0,0]
	v_pk_add_f32 v[10:11], v[10:11], v[14:15]
	v_pk_mul_f32 v[14:15], v[16:17], s[10:11] op_sel_hi:[1,0]
	v_mov_b32_e32 v19, v3
	v_pk_add_f32 v[2:3], v[74:75], v[6:7]
	v_pk_mul_f32 v[8:9], v[8:9], s[12:13] op_sel_hi:[1,0]
	v_pk_add_f32 v[16:17], v[22:23], v[14:15] op_sel:[0,1] op_sel_hi:[1,0]
	v_pk_add_f32 v[14:15], v[22:23], v[14:15] op_sel:[0,1] op_sel_hi:[1,0] neg_lo:[0,1] neg_hi:[0,1]
	v_pk_add_f32 v[2:3], v[2:3], v[18:19]
	v_pk_add_f32 v[14:15], v[14:15], v[8:9] op_sel:[0,1] op_sel_hi:[1,0]
	v_pk_add_f32 v[8:9], v[16:17], v[8:9] op_sel:[0,1] op_sel_hi:[1,0] neg_lo:[0,1] neg_hi:[0,1]
	v_pk_add_f32 v[2:3], v[2:3], v[56:57]
	v_mov_b32_e32 v16, v8
	v_mov_b32_e32 v17, v15
	;; [unrolled: 1-line block ×4, first 2 shown]
	v_pk_add_f32 v[2:3], v[2:3], v[20:21]
	v_pk_fma_f32 v[16:17], v[10:11], s[2:3], v[16:17] op_sel_hi:[1,0,1]
	v_pk_fma_f32 v[8:9], v[10:11], s[2:3], v[14:15] op_sel_hi:[1,0,1]
	;; [unrolled: 1-line block ×3, first 2 shown]
	ds_write_b64 v70, v[16:17] offset:5376
	ds_write_b64 v70, v[8:9] offset:8064
	;; [unrolled: 1-line block ×3, first 2 shown]
	ds_write_b64 v69, v[2:3]
	v_pk_add_f32 v[2:3], v[18:19], v[56:57]
	v_pk_add_f32 v[4:5], v[6:7], v[20:21] neg_lo:[0,1] neg_hi:[0,1]
	v_pk_fma_f32 v[2:3], v[2:3], 0.5, v[74:75] op_sel_hi:[1,0,1] neg_lo:[1,0,0] neg_hi:[1,0,0]
	v_pk_mul_f32 v[8:9], v[4:5], s[10:11] op_sel_hi:[1,0]
	v_pk_add_f32 v[10:11], v[18:19], v[56:57] neg_lo:[0,1] neg_hi:[0,1]
	v_pk_add_f32 v[14:15], v[6:7], v[18:19] neg_lo:[0,1] neg_hi:[0,1]
	;; [unrolled: 1-line block ×3, first 2 shown]
	v_pk_mul_f32 v[12:13], v[10:11], s[12:13] op_sel_hi:[1,0]
	v_pk_add_f32 v[14:15], v[14:15], v[16:17]
	v_pk_add_f32 v[16:17], v[2:3], v[8:9] op_sel:[0,1] op_sel_hi:[1,0] neg_lo:[0,1] neg_hi:[0,1]
	v_pk_add_f32 v[2:3], v[2:3], v[8:9] op_sel:[0,1] op_sel_hi:[1,0]
	v_pk_add_f32 v[8:9], v[16:17], v[12:13] op_sel:[0,1] op_sel_hi:[1,0] neg_lo:[0,1] neg_hi:[0,1]
	v_pk_add_f32 v[2:3], v[2:3], v[12:13] op_sel:[0,1] op_sel_hi:[1,0]
	v_mov_b32_e32 v12, v8
	v_mov_b32_e32 v13, v3
	v_pk_fma_f32 v[12:13], v[14:15], s[2:3], v[12:13] op_sel_hi:[1,0,1]
	ds_write_b64 v69, v[12:13] offset:2688
	v_pk_add_f32 v[12:13], v[6:7], v[20:21]
	v_pk_add_f32 v[6:7], v[18:19], v[6:7] neg_lo:[0,1] neg_hi:[0,1]
	v_pk_fma_f32 v[12:13], v[12:13], 0.5, v[74:75] op_sel_hi:[1,0,1] neg_lo:[1,0,0] neg_hi:[1,0,0]
	v_pk_add_f32 v[16:17], v[56:57], v[20:21] neg_lo:[0,1] neg_hi:[0,1]
	v_pk_mul_f32 v[10:11], v[10:11], s[10:11] op_sel_hi:[1,0]
	v_pk_add_f32 v[6:7], v[6:7], v[16:17]
	v_pk_mul_f32 v[4:5], v[4:5], s[12:13] op_sel_hi:[1,0]
	v_pk_add_f32 v[16:17], v[12:13], v[10:11] op_sel:[0,1] op_sel_hi:[1,0]
	v_pk_add_f32 v[10:11], v[12:13], v[10:11] op_sel:[0,1] op_sel_hi:[1,0] neg_lo:[0,1] neg_hi:[0,1]
	v_mov_b32_e32 v3, v9
	v_pk_add_f32 v[10:11], v[10:11], v[4:5] op_sel:[0,1] op_sel_hi:[1,0]
	v_pk_add_f32 v[4:5], v[16:17], v[4:5] op_sel:[0,1] op_sel_hi:[1,0] neg_lo:[0,1] neg_hi:[0,1]
	v_mov_b32_e32 v13, v11
	v_mov_b32_e32 v12, v4
	;; [unrolled: 1-line block ×3, first 2 shown]
	v_pk_fma_f32 v[12:13], v[6:7], s[2:3], v[12:13] op_sel_hi:[1,0,1]
	v_pk_fma_f32 v[4:5], v[6:7], s[2:3], v[10:11] op_sel_hi:[1,0,1]
	v_pk_fma_f32 v[2:3], v[14:15], s[2:3], v[2:3] op_sel_hi:[1,0,1]
	ds_write_b64 v69, v[12:13] offset:5376
	ds_write_b64 v69, v[4:5] offset:8064
	;; [unrolled: 1-line block ×3, first 2 shown]
	s_waitcnt lgkmcnt(0)
	s_barrier
	ds_read_b64 v[6:7], v45
	v_sub_u32_e32 v8, 0, v39
	v_cmp_ne_u32_e64 s[2:3], 0, v38
                                        ; implicit-def: $vgpr4_vgpr5
                                        ; implicit-def: $vgpr3
	s_and_saveexec_b64 s[10:11], s[2:3]
	s_xor_b64 s[2:3], exec, s[10:11]
	s_cbranch_execz .LBB0_33
; %bb.32:
	v_mov_b32_e32 v39, v1
	v_lshl_add_u64 v[0:1], v[38:39], 3, s[8:9]
	global_load_dwordx2 v[0:1], v[0:1], off
	ds_read_b64 v[2:3], v8 offset:13440
	v_mov_b32_e32 v5, 0.5
	v_mov_b32_e32 v10, v5
	s_waitcnt lgkmcnt(0)
	v_pk_add_f32 v[12:13], v[2:3], v[6:7]
	v_pk_add_f32 v[2:3], v[6:7], v[2:3] neg_lo:[0,1] neg_hi:[0,1]
	v_mov_b32_e32 v6, v13
	v_mov_b32_e32 v7, v2
	v_pk_mul_f32 v[6:7], v[6:7], 0.5 op_sel_hi:[1,0]
	s_waitcnt vmcnt(0)
	v_mov_b32_e32 v4, v1
	v_mov_b32_e32 v2, v7
	;; [unrolled: 1-line block ×4, first 2 shown]
	v_pk_mul_f32 v[2:3], v[4:5], v[2:3]
	v_pk_mul_f32 v[14:15], v[0:1], v[6:7] op_sel_hi:[0,1]
	v_pk_fma_f32 v[4:5], v[12:13], v[10:11], v[2:3]
	v_pk_fma_f32 v[10:11], v[12:13], v[10:11], v[2:3] neg_lo:[0,0,1] neg_hi:[0,0,1]
	v_add_f32_e32 v2, v14, v4
	v_sub_f32_e32 v3, v5, v15
	ds_write_b32 v45, v2
	v_pk_fma_f32 v[4:5], v[0:1], v[6:7], v[10:11] op_sel_hi:[0,1,1] neg_lo:[1,0,0] neg_hi:[1,0,0]
                                        ; implicit-def: $vgpr6_vgpr7
.LBB0_33:
	s_andn2_saveexec_b64 s[2:3], s[2:3]
	s_cbranch_execz .LBB0_35
; %bb.34:
	s_waitcnt lgkmcnt(0)
	v_mov_b32_e32 v0, v7
	v_pk_add_f32 v[2:3], v[6:7], v[0:1] neg_lo:[0,1] neg_hi:[0,1]
	v_add_f32_e32 v1, v7, v6
	v_mov_b32_e32 v3, 0
	ds_read_b32 v0, v3 offset:6724
	v_mov_b64_e32 v[4:5], v[2:3]
	ds_write_b32 v45, v1
	s_waitcnt lgkmcnt(1)
	v_xor_b32_e32 v0, 0x80000000, v0
	ds_write_b32 v3, v0 offset:6724
.LBB0_35:
	s_or_b64 exec, exec, s[2:3]
	v_mov_b32_e32 v43, 0
	v_lshl_add_u64 v[0:1], v[42:43], 3, s[8:9]
	s_waitcnt lgkmcnt(0)
	global_load_dwordx2 v[6:7], v[0:1], off
	v_mov_b32_e32 v55, v43
	v_lshl_add_u64 v[0:1], v[54:55], 3, s[8:9]
	global_load_dwordx2 v[10:11], v[0:1], off
	v_mov_b32_e32 v53, v43
	v_lshl_add_u64 v[0:1], v[52:53], 3, s[8:9]
	;; [unrolled: 3-line block ×3, first 2 shown]
	global_load_dwordx2 v[14:15], v[0:1], off
	v_mov_b32_e32 v49, v43
	ds_write_b32 v45, v3 offset:4
	ds_write_b64 v8, v[4:5] offset:13440
	v_lshl_add_u64 v[20:21], v[48:49], 3, s[8:9]
	ds_read_b64 v[2:3], v70
	ds_read_b64 v[4:5], v8 offset:12544
	global_load_dwordx2 v[20:21], v[20:21], off
	v_mov_b32_e32 v1, 0.5
	v_mov_b32_e32 v16, v1
	v_mov_b32_e32 v47, v43
	s_waitcnt lgkmcnt(0)
	v_pk_add_f32 v[22:23], v[2:3], v[4:5]
	v_pk_add_f32 v[2:3], v[2:3], v[4:5] neg_lo:[0,1] neg_hi:[0,1]
	v_mov_b32_e32 v4, v23
	v_mov_b32_e32 v5, v2
	v_pk_mul_f32 v[4:5], v[4:5], 0.5 op_sel_hi:[1,0]
	v_mov_b32_e32 v18, v1
	v_mov_b32_e32 v2, v5
	;; [unrolled: 1-line block ×3, first 2 shown]
	s_waitcnt vmcnt(4)
	v_mov_b32_e32 v0, v7
	v_mov_b32_e32 v17, v7
	v_pk_mul_f32 v[2:3], v[0:1], v[2:3]
	s_waitcnt vmcnt(3)
	v_mov_b32_e32 v0, v11
	v_pk_fma_f32 v[24:25], v[22:23], v[16:17], v[2:3]
	v_pk_fma_f32 v[2:3], v[22:23], v[16:17], v[2:3] neg_lo:[0,0,1] neg_hi:[0,0,1]
	v_pk_fma_f32 v[16:17], v[6:7], v[4:5], v[24:25]
	v_pk_fma_f32 v[22:23], v[6:7], v[4:5], v[24:25] op_sel_hi:[0,1,1] neg_lo:[1,0,0] neg_hi:[1,0,0]
	v_mov_b32_e32 v17, v23
	v_pk_fma_f32 v[2:3], v[6:7], v[4:5], v[2:3] op_sel_hi:[0,1,1] neg_lo:[1,0,0] neg_hi:[1,0,0]
	ds_write_b64 v70, v[16:17]
	ds_write_b64 v8, v[2:3] offset:12544
	v_lshl_add_u64 v[6:7], v[46:47], 3, s[8:9]
	ds_read_b64 v[2:3], v69
	ds_read_b64 v[4:5], v8 offset:11648
	global_load_dwordx2 v[6:7], v[6:7], off
	v_mov_b32_e32 v19, v11
	s_waitcnt lgkmcnt(0)
	v_pk_add_f32 v[16:17], v[2:3], v[4:5]
	v_pk_add_f32 v[2:3], v[2:3], v[4:5] neg_lo:[0,1] neg_hi:[0,1]
	v_mov_b32_e32 v4, v17
	v_mov_b32_e32 v5, v2
	v_pk_mul_f32 v[4:5], v[4:5], 0.5 op_sel_hi:[1,0]
	s_nop 0
	v_mov_b32_e32 v2, v5
	v_mov_b32_e32 v17, v4
	v_pk_mul_f32 v[2:3], v[0:1], v[2:3]
	s_waitcnt vmcnt(3)
	v_mov_b32_e32 v0, v13
	v_pk_fma_f32 v[22:23], v[16:17], v[18:19], v[2:3]
	v_pk_fma_f32 v[2:3], v[16:17], v[18:19], v[2:3] neg_lo:[0,0,1] neg_hi:[0,0,1]
	v_pk_fma_f32 v[16:17], v[10:11], v[4:5], v[22:23]
	v_pk_fma_f32 v[18:19], v[10:11], v[4:5], v[22:23] op_sel_hi:[0,1,1] neg_lo:[1,0,0] neg_hi:[1,0,0]
	v_mov_b32_e32 v17, v19
	v_pk_fma_f32 v[2:3], v[10:11], v[4:5], v[2:3] op_sel_hi:[0,1,1] neg_lo:[1,0,0] neg_hi:[1,0,0]
	ds_write_b64 v69, v[16:17]
	ds_write_b64 v8, v[2:3] offset:11648
	ds_read_b64 v[2:3], v68
	ds_read_b64 v[4:5], v8 offset:10752
	v_mov_b32_e32 v10, v1
	v_mov_b32_e32 v11, v13
	s_waitcnt lgkmcnt(0)
	v_pk_add_f32 v[16:17], v[2:3], v[4:5]
	v_pk_add_f32 v[2:3], v[2:3], v[4:5] neg_lo:[0,1] neg_hi:[0,1]
	v_mov_b32_e32 v4, v17
	v_mov_b32_e32 v5, v2
	v_pk_mul_f32 v[4:5], v[4:5], 0.5 op_sel_hi:[1,0]
	s_nop 0
	v_mov_b32_e32 v2, v5
	v_mov_b32_e32 v17, v4
	v_pk_mul_f32 v[2:3], v[0:1], v[2:3]
	s_waitcnt vmcnt(2)
	v_mov_b32_e32 v0, v15
	v_pk_fma_f32 v[18:19], v[16:17], v[10:11], v[2:3]
	v_pk_fma_f32 v[2:3], v[16:17], v[10:11], v[2:3] neg_lo:[0,0,1] neg_hi:[0,0,1]
	v_pk_fma_f32 v[10:11], v[12:13], v[4:5], v[18:19]
	v_pk_fma_f32 v[16:17], v[12:13], v[4:5], v[18:19] op_sel_hi:[0,1,1] neg_lo:[1,0,0] neg_hi:[1,0,0]
	v_mov_b32_e32 v11, v17
	v_pk_fma_f32 v[2:3], v[12:13], v[4:5], v[2:3] op_sel_hi:[0,1,1] neg_lo:[1,0,0] neg_hi:[1,0,0]
	ds_write_b64 v68, v[10:11]
	ds_write_b64 v8, v[2:3] offset:10752
	ds_read_b64 v[2:3], v67
	ds_read_b64 v[4:5], v8 offset:9856
	v_mov_b32_e32 v10, v1
	;; [unrolled: 24-line block ×4, first 2 shown]
	v_mov_b32_e32 v11, v7
	s_waitcnt lgkmcnt(0)
	v_pk_add_f32 v[12:13], v[2:3], v[4:5]
	v_pk_add_f32 v[2:3], v[2:3], v[4:5] neg_lo:[0,1] neg_hi:[0,1]
	v_mov_b32_e32 v4, v13
	v_mov_b32_e32 v5, v2
	v_pk_mul_f32 v[4:5], v[4:5], 0.5 op_sel_hi:[1,0]
	s_nop 0
	v_mov_b32_e32 v2, v5
	v_mov_b32_e32 v13, v4
	v_pk_mul_f32 v[2:3], v[0:1], v[2:3]
	s_nop 0
	v_pk_fma_f32 v[14:15], v[12:13], v[10:11], v[2:3]
	v_pk_fma_f32 v[2:3], v[12:13], v[10:11], v[2:3] neg_lo:[0,0,1] neg_hi:[0,0,1]
	v_pk_fma_f32 v[10:11], v[6:7], v[4:5], v[14:15]
	v_pk_fma_f32 v[12:13], v[6:7], v[4:5], v[14:15] op_sel_hi:[0,1,1] neg_lo:[1,0,0] neg_hi:[1,0,0]
	v_mov_b32_e32 v11, v13
	v_pk_fma_f32 v[2:3], v[6:7], v[4:5], v[2:3] op_sel_hi:[0,1,1] neg_lo:[1,0,0] neg_hi:[1,0,0]
	ds_write_b64 v65, v[10:11]
	ds_write_b64 v8, v[2:3] offset:8064
	s_and_saveexec_b64 s[2:3], vcc
	s_cbranch_execz .LBB0_37
; %bb.36:
	v_mov_b32_e32 v45, v43
	v_lshl_add_u64 v[2:3], v[44:45], 3, s[8:9]
	global_load_dwordx2 v[2:3], v[2:3], off
	ds_read_b64 v[4:5], v64
	ds_read_b64 v[6:7], v8 offset:7168
	v_mov_b32_e32 v10, v1
	s_waitcnt lgkmcnt(0)
	v_pk_add_f32 v[12:13], v[4:5], v[6:7]
	v_pk_add_f32 v[4:5], v[4:5], v[6:7] neg_lo:[0,1] neg_hi:[0,1]
	v_mov_b32_e32 v6, v13
	v_mov_b32_e32 v7, v4
	v_pk_mul_f32 v[6:7], v[6:7], 0.5 op_sel_hi:[1,0]
	s_waitcnt vmcnt(0)
	v_mov_b32_e32 v0, v3
	v_mov_b32_e32 v4, v7
	;; [unrolled: 1-line block ×4, first 2 shown]
	v_pk_mul_f32 v[0:1], v[0:1], v[4:5]
	s_nop 0
	v_pk_fma_f32 v[4:5], v[12:13], v[10:11], v[0:1]
	v_pk_fma_f32 v[0:1], v[12:13], v[10:11], v[0:1] neg_lo:[0,0,1] neg_hi:[0,0,1]
	v_pk_fma_f32 v[10:11], v[2:3], v[6:7], v[4:5]
	v_pk_fma_f32 v[4:5], v[2:3], v[6:7], v[4:5] op_sel_hi:[0,1,1] neg_lo:[1,0,0] neg_hi:[1,0,0]
	v_mov_b32_e32 v11, v5
	v_pk_fma_f32 v[0:1], v[2:3], v[6:7], v[0:1] op_sel_hi:[0,1,1] neg_lo:[1,0,0] neg_hi:[1,0,0]
	ds_write_b64 v64, v[10:11]
	ds_write_b64 v8, v[0:1] offset:7168
.LBB0_37:
	s_or_b64 exec, exec, s[2:3]
	s_waitcnt lgkmcnt(0)
	s_barrier
	s_and_saveexec_b64 s[2:3], s[0:1]
	s_cbranch_execz .LBB0_40
; %bb.38:
	v_mul_lo_u32 v2, s5, v40
	v_mul_lo_u32 v3, s4, v41
	v_mad_u64_u32 v[0:1], s[0:1], s4, v40, 0
	v_lshl_add_u32 v10, v38, 3, 0
	v_add3_u32 v1, v1, v3, v2
	ds_read2_b64 v[2:5], v10 offset1:112
	v_lshl_add_u64 v[0:1], v[0:1], 3, s[6:7]
	v_mov_b32_e32 v39, 0
	v_lshl_add_u64 v[0:1], v[36:37], 3, v[0:1]
	v_lshl_add_u64 v[6:7], v[38:39], 3, v[0:1]
	s_waitcnt lgkmcnt(0)
	global_store_dwordx2 v[6:7], v[2:3], off
	v_add_u32_e32 v6, 0x400, v10
	ds_read2_b64 v[6:9], v6 offset0:96 offset1:208
	v_add_u32_e32 v2, 0x70, v38
	v_mov_b32_e32 v3, v39
	v_lshl_add_u64 v[2:3], v[2:3], 3, v[0:1]
	global_store_dwordx2 v[2:3], v[4:5], off
	v_add_u32_e32 v2, 0xe0, v38
	v_mov_b32_e32 v3, v39
	v_lshl_add_u64 v[2:3], v[2:3], 3, v[0:1]
	s_waitcnt lgkmcnt(0)
	global_store_dwordx2 v[2:3], v[6:7], off
	v_add_u32_e32 v2, 0x150, v38
	v_mov_b32_e32 v3, v39
	v_lshl_add_u64 v[6:7], v[2:3], 3, v[0:1]
	v_add_u32_e32 v2, 0xc00, v10
	ds_read2_b64 v[2:5], v2 offset0:64 offset1:176
	global_store_dwordx2 v[6:7], v[8:9], off
	v_add_u32_e32 v6, 0x1c0, v38
	v_mov_b32_e32 v7, v39
	v_lshl_add_u64 v[6:7], v[6:7], 3, v[0:1]
	s_waitcnt lgkmcnt(0)
	global_store_dwordx2 v[6:7], v[2:3], off
	v_add_u32_e32 v6, 0x1400, v10
	ds_read2_b64 v[6:9], v6 offset0:32 offset1:144
	v_add_u32_e32 v2, 0x230, v38
	v_mov_b32_e32 v3, v39
	v_lshl_add_u64 v[2:3], v[2:3], 3, v[0:1]
	global_store_dwordx2 v[2:3], v[4:5], off
	v_add_u32_e32 v2, 0x2a0, v38
	v_mov_b32_e32 v3, v39
	v_lshl_add_u64 v[2:3], v[2:3], 3, v[0:1]
	s_waitcnt lgkmcnt(0)
	global_store_dwordx2 v[2:3], v[6:7], off
	v_add_u32_e32 v2, 0x310, v38
	v_mov_b32_e32 v3, v39
	v_lshl_add_u64 v[6:7], v[2:3], 3, v[0:1]
	v_add_u32_e32 v2, 0x1800, v10
	ds_read2_b64 v[2:5], v2 offset0:128 offset1:240
	global_store_dwordx2 v[6:7], v[8:9], off
	v_add_u32_e32 v6, 0x380, v38
	v_mov_b32_e32 v7, v39
	v_lshl_add_u64 v[6:7], v[6:7], 3, v[0:1]
	s_waitcnt lgkmcnt(0)
	global_store_dwordx2 v[6:7], v[2:3], off
	v_add_u32_e32 v6, 0x2000, v10
	ds_read2_b64 v[6:9], v6 offset0:96 offset1:208
	v_add_u32_e32 v2, 0x3f0, v38
	v_mov_b32_e32 v3, v39
	v_lshl_add_u64 v[2:3], v[2:3], 3, v[0:1]
	global_store_dwordx2 v[2:3], v[4:5], off
	v_add_u32_e32 v2, 0x460, v38
	v_mov_b32_e32 v3, v39
	v_lshl_add_u64 v[2:3], v[2:3], 3, v[0:1]
	s_waitcnt lgkmcnt(0)
	global_store_dwordx2 v[2:3], v[6:7], off
	v_add_u32_e32 v2, 0x4d0, v38
	v_mov_b32_e32 v3, v39
	v_lshl_add_u64 v[6:7], v[2:3], 3, v[0:1]
	v_add_u32_e32 v2, 0x2800, v10
	ds_read2_b64 v[2:5], v2 offset0:64 offset1:176
	global_store_dwordx2 v[6:7], v[8:9], off
	v_add_u32_e32 v6, 0x540, v38
	v_mov_b32_e32 v7, v39
	v_lshl_add_u64 v[6:7], v[6:7], 3, v[0:1]
	s_waitcnt lgkmcnt(0)
	global_store_dwordx2 v[6:7], v[2:3], off
	ds_read_b64 v[6:7], v10 offset:12544
	v_add_u32_e32 v2, 0x5b0, v38
	v_mov_b32_e32 v3, v39
	v_lshl_add_u64 v[2:3], v[2:3], 3, v[0:1]
	global_store_dwordx2 v[2:3], v[4:5], off
	v_add_u32_e32 v2, 0x620, v38
	v_mov_b32_e32 v3, v39
	s_movk_i32 s0, 0x6f
	v_lshl_add_u64 v[2:3], v[2:3], 3, v[0:1]
	v_cmp_eq_u32_e32 vcc, s0, v38
	s_waitcnt lgkmcnt(0)
	global_store_dwordx2 v[2:3], v[6:7], off
	s_and_b64 exec, exec, vcc
	s_cbranch_execz .LBB0_40
; %bb.39:
	ds_read_b64 v[2:3], v39 offset:13440
	v_add_co_u32_e32 v0, vcc, 0x3000, v0
	s_nop 1
	v_addc_co_u32_e32 v1, vcc, 0, v1, vcc
	s_waitcnt lgkmcnt(0)
	global_store_dwordx2 v[0:1], v[2:3], off offset:1152
.LBB0_40:
	s_endpgm
	.section	.rodata,"a",@progbits
	.p2align	6, 0x0
	.amdhsa_kernel fft_rtc_back_len1680_factors_2_2_2_2_3_7_5_wgs_112_tpt_112_halfLds_sp_op_CI_CI_unitstride_sbrr_R2C_dirReg
		.amdhsa_group_segment_fixed_size 0
		.amdhsa_private_segment_fixed_size 0
		.amdhsa_kernarg_size 104
		.amdhsa_user_sgpr_count 2
		.amdhsa_user_sgpr_dispatch_ptr 0
		.amdhsa_user_sgpr_queue_ptr 0
		.amdhsa_user_sgpr_kernarg_segment_ptr 1
		.amdhsa_user_sgpr_dispatch_id 0
		.amdhsa_user_sgpr_kernarg_preload_length 0
		.amdhsa_user_sgpr_kernarg_preload_offset 0
		.amdhsa_user_sgpr_private_segment_size 0
		.amdhsa_uses_dynamic_stack 0
		.amdhsa_enable_private_segment 0
		.amdhsa_system_sgpr_workgroup_id_x 1
		.amdhsa_system_sgpr_workgroup_id_y 0
		.amdhsa_system_sgpr_workgroup_id_z 0
		.amdhsa_system_sgpr_workgroup_info 0
		.amdhsa_system_vgpr_workitem_id 0
		.amdhsa_next_free_vgpr 128
		.amdhsa_next_free_sgpr 28
		.amdhsa_accum_offset 128
		.amdhsa_reserve_vcc 1
		.amdhsa_float_round_mode_32 0
		.amdhsa_float_round_mode_16_64 0
		.amdhsa_float_denorm_mode_32 3
		.amdhsa_float_denorm_mode_16_64 3
		.amdhsa_dx10_clamp 1
		.amdhsa_ieee_mode 1
		.amdhsa_fp16_overflow 0
		.amdhsa_tg_split 0
		.amdhsa_exception_fp_ieee_invalid_op 0
		.amdhsa_exception_fp_denorm_src 0
		.amdhsa_exception_fp_ieee_div_zero 0
		.amdhsa_exception_fp_ieee_overflow 0
		.amdhsa_exception_fp_ieee_underflow 0
		.amdhsa_exception_fp_ieee_inexact 0
		.amdhsa_exception_int_div_zero 0
	.end_amdhsa_kernel
	.text
.Lfunc_end0:
	.size	fft_rtc_back_len1680_factors_2_2_2_2_3_7_5_wgs_112_tpt_112_halfLds_sp_op_CI_CI_unitstride_sbrr_R2C_dirReg, .Lfunc_end0-fft_rtc_back_len1680_factors_2_2_2_2_3_7_5_wgs_112_tpt_112_halfLds_sp_op_CI_CI_unitstride_sbrr_R2C_dirReg
                                        ; -- End function
	.section	.AMDGPU.csdata,"",@progbits
; Kernel info:
; codeLenInByte = 12232
; NumSgprs: 34
; NumVgprs: 128
; NumAgprs: 0
; TotalNumVgprs: 128
; ScratchSize: 0
; MemoryBound: 0
; FloatMode: 240
; IeeeMode: 1
; LDSByteSize: 0 bytes/workgroup (compile time only)
; SGPRBlocks: 4
; VGPRBlocks: 15
; NumSGPRsForWavesPerEU: 34
; NumVGPRsForWavesPerEU: 128
; AccumOffset: 128
; Occupancy: 4
; WaveLimiterHint : 1
; COMPUTE_PGM_RSRC2:SCRATCH_EN: 0
; COMPUTE_PGM_RSRC2:USER_SGPR: 2
; COMPUTE_PGM_RSRC2:TRAP_HANDLER: 0
; COMPUTE_PGM_RSRC2:TGID_X_EN: 1
; COMPUTE_PGM_RSRC2:TGID_Y_EN: 0
; COMPUTE_PGM_RSRC2:TGID_Z_EN: 0
; COMPUTE_PGM_RSRC2:TIDIG_COMP_CNT: 0
; COMPUTE_PGM_RSRC3_GFX90A:ACCUM_OFFSET: 31
; COMPUTE_PGM_RSRC3_GFX90A:TG_SPLIT: 0
	.text
	.p2alignl 6, 3212836864
	.fill 256, 4, 3212836864
	.type	__hip_cuid_605fcb9e97be3a7b,@object ; @__hip_cuid_605fcb9e97be3a7b
	.section	.bss,"aw",@nobits
	.globl	__hip_cuid_605fcb9e97be3a7b
__hip_cuid_605fcb9e97be3a7b:
	.byte	0                               ; 0x0
	.size	__hip_cuid_605fcb9e97be3a7b, 1

	.ident	"AMD clang version 19.0.0git (https://github.com/RadeonOpenCompute/llvm-project roc-6.4.0 25133 c7fe45cf4b819c5991fe208aaa96edf142730f1d)"
	.section	".note.GNU-stack","",@progbits
	.addrsig
	.addrsig_sym __hip_cuid_605fcb9e97be3a7b
	.amdgpu_metadata
---
amdhsa.kernels:
  - .agpr_count:     0
    .args:
      - .actual_access:  read_only
        .address_space:  global
        .offset:         0
        .size:           8
        .value_kind:     global_buffer
      - .offset:         8
        .size:           8
        .value_kind:     by_value
      - .actual_access:  read_only
        .address_space:  global
        .offset:         16
        .size:           8
        .value_kind:     global_buffer
      - .actual_access:  read_only
        .address_space:  global
        .offset:         24
        .size:           8
        .value_kind:     global_buffer
      - .actual_access:  read_only
        .address_space:  global
        .offset:         32
        .size:           8
        .value_kind:     global_buffer
      - .offset:         40
        .size:           8
        .value_kind:     by_value
      - .actual_access:  read_only
        .address_space:  global
        .offset:         48
        .size:           8
        .value_kind:     global_buffer
      - .actual_access:  read_only
        .address_space:  global
        .offset:         56
        .size:           8
        .value_kind:     global_buffer
      - .offset:         64
        .size:           4
        .value_kind:     by_value
      - .actual_access:  read_only
        .address_space:  global
        .offset:         72
        .size:           8
        .value_kind:     global_buffer
      - .actual_access:  read_only
        .address_space:  global
        .offset:         80
        .size:           8
        .value_kind:     global_buffer
      - .actual_access:  read_only
        .address_space:  global
        .offset:         88
        .size:           8
        .value_kind:     global_buffer
      - .actual_access:  write_only
        .address_space:  global
        .offset:         96
        .size:           8
        .value_kind:     global_buffer
    .group_segment_fixed_size: 0
    .kernarg_segment_align: 8
    .kernarg_segment_size: 104
    .language:       OpenCL C
    .language_version:
      - 2
      - 0
    .max_flat_workgroup_size: 112
    .name:           fft_rtc_back_len1680_factors_2_2_2_2_3_7_5_wgs_112_tpt_112_halfLds_sp_op_CI_CI_unitstride_sbrr_R2C_dirReg
    .private_segment_fixed_size: 0
    .sgpr_count:     34
    .sgpr_spill_count: 0
    .symbol:         fft_rtc_back_len1680_factors_2_2_2_2_3_7_5_wgs_112_tpt_112_halfLds_sp_op_CI_CI_unitstride_sbrr_R2C_dirReg.kd
    .uniform_work_group_size: 1
    .uses_dynamic_stack: false
    .vgpr_count:     128
    .vgpr_spill_count: 0
    .wavefront_size: 64
amdhsa.target:   amdgcn-amd-amdhsa--gfx950
amdhsa.version:
  - 1
  - 2
...

	.end_amdgpu_metadata
